;; amdgpu-corpus repo=ROCm/aiter kind=harvested arch=n/a opt=n/a

/root/src/amdgpu-assembly/repos/ROCm__aiter/hsa/gfx950/bf16gemm/bf16gemm_fp32bf16_tn_80x64_splitk_clean.co:	file format elf64-amdgpu

Disassembly of section .text:

0000000000002a00 <_ZN5aiter39bf16gemm_fp32bf16_tn_80x64_splitk_cleanE>:
	s_mov_b32 s53, s4                                          // 000000002A00: BEB50004
	s_and_b32 s1, s1, 0xffff                                   // 000000002A04: 8601FF01 0000FFFF
	s_load_dword s25, s[0:1], 0xe0                             // 000000002A0C: C0020640 000000E0
	s_load_dword s26, s[0:1], 0xf0                             // 000000002A14: C0020680 000000F0
	s_load_dword s27, s[0:1], 0x100                            // 000000002A1C: C00206C0 00000100
	s_load_dword s28, s[0:1], 0xa0                             // 000000002A24: C0020700 000000A0
	s_load_dword s29, s[0:1], 0xc0                             // 000000002A2C: C0020740 000000C0
	s_load_dword s30, s[0:1], 0x80                             // 000000002A34: C0020780 00000080
	s_load_dword s20, s[0:1], 0x40                             // 000000002A3C: C0020500 00000040
	s_load_dword s21, s[0:1], 0x50                             // 000000002A44: C0020540 00000050
	s_load_dwordx2 s[4:5], s[0:1], 0x20                        // 000000002A4C: C0060100 00000020
	s_load_dwordx2 s[8:9], s[0:1], 0x30                        // 000000002A54: C0060200 00000030
	s_load_dwordx2 s[12:13], s[0:1], 0x10                      // 000000002A5C: C0060300 00000010
	s_load_dwordx2 s[16:17], s[0:1], 0x0                       // 000000002A64: C0060400 00000000
	s_load_dword s52, s[0:1], 0x110                            // 000000002A6C: C0020D00 00000110
	s_load_dword s54, s[0:1], 0x120                            // 000000002A74: C0020D80 00000120
	s_load_dwordx2 s[36:37], s[0:1], 0x130                     // 000000002A7C: C0060900 00000130
	s_load_dword s61, s[0:1], 0x140                            // 000000002A84: C0020F40 00000140
	s_load_dwordx2 s[40:41], s[0:1], 0x150                     // 000000002A8C: C0060A00 00000150
	v_lshrrev_b32_e32 v1, 10, v0                               // 000000002A94: 2002008A
	v_lshrrev_b32_e32 v2, 10, v1                               // 000000002A98: 2004028A
	v_and_b32_e32 v2, 0x3ff, v2                                // 000000002A9C: 260404FF 000003FF
	v_and_b32_e32 v1, 0x3ff, v1                                // 000000002AA4: 260202FF 000003FF
	v_and_b32_e32 v0, 0x3ff, v0                                // 000000002AAC: 260000FF 000003FF
	v_lshrrev_b32_e32 v3, 6, v0                                // 000000002AB4: 20060086
	v_and_b32_e32 v0, 63, v0                                   // 000000002AB8: 260000BF
	s_mov_b32 s22, s2                                          // 000000002ABC: BE960002
	s_mov_b32 s23, s3                                          // 000000002AC0: BE970003
	v_readfirstlane_b32 s24, v3                                // 000000002AC4: 7E300503
	s_waitcnt lgkmcnt(0)                                       // 000000002AC8: BF8CC07F
	s_mov_b32 s18, -16                                         // 000000002ACC: BE9200D0
	s_mov_b32 s14, -16                                         // 000000002AD0: BE8E00D0
	s_mov_b32 s10, -16                                         // 000000002AD4: BE8A00D0
	s_mov_b32 s6, -16                                          // 000000002AD8: BE8600D0
	s_mov_b32 s38, -16                                         // 000000002ADC: BEA600D0
	s_mov_b32 s19, 0x20000                                     // 000000002AE0: BE9300FF 00020000
	s_mov_b32 s15, 0x20000                                     // 000000002AE8: BE8F00FF 00020000
	s_mov_b32 s11, 0x20000                                     // 000000002AF0: BE8B00FF 00020000
	s_mov_b32 s7, 0x20000                                      // 000000002AF8: BE8700FF 00020000
	s_mov_b32 s39, 0x20000                                     // 000000002B00: BEA700FF 00020000
	s_and_b32 s17, s17, 0xffff                                 // 000000002B08: 8611FF11 0000FFFF
	s_and_b32 s13, s13, 0xffff                                 // 000000002B10: 860DFF0D 0000FFFF
	s_and_b32 s9, s9, 0xffff                                   // 000000002B18: 8609FF09 0000FFFF
	s_and_b32 s5, s5, 0xffff                                   // 000000002B20: 8605FF05 0000FFFF
	s_and_b32 s37, s37, 0xffff                                 // 000000002B28: 8625FF25 0000FFFF
	s_or_b32 s17, s17, 0x40000                                 // 000000002B30: 8711FF11 00040000
	s_or_b32 s13, s13, 0x40000                                 // 000000002B38: 870DFF0D 00040000
	s_or_b32 s9, s9, 0x40000                                   // 000000002B40: 8709FF09 00040000
	s_or_b32 s5, s5, 0x40000                                   // 000000002B48: 8705FF05 00040000
	s_or_b32 s37, s37, 0x40000                                 // 000000002B50: 8725FF25 00040000
	s_add_u32 s31, s26, 63                                     // 000000002B58: 801FBF1A
	s_lshr_b32 s31, s31, 6                                     // 000000002B5C: 8F1F861F
	s_mul_i32 s62, s23, s31                                    // 000000002B60: 923E1F17
	s_add_u32 s62, s62, s22                                    // 000000002B64: 803E163E
	s_lshl_b32 s62, s62, 2                                     // 000000002B68: 8E3E823E
	s_cmp_eq_u32 s53, 0                                        // 000000002B6C: BF068035
	s_cbranch_scc0 label_005F                                  // 000000002B70: BF840002
	s_load_dword s63, s[40:41], s62 glc                        // 000000002B74: C0010FD4 0000003E

0000000000002b7c <label_005F>:
	s_mov_b32 s35, 0x7060302                                   // 000000002B7C: BEA300FF 07060302
	v_mov_b32_e32 v9, 0xffff0000                               // 000000002B84: 7E1202FF FFFF0000
	v_mov_b32_e32 v10, 0x7fff0000                              // 000000002B8C: 7E1402FF 7FFF0000
	v_mov_b32_e32 v11, 0x7fff                                  // 000000002B94: 7E1602FF 00007FFF
	s_mul_i32 s31, s30, s25                                    // 000000002B9C: 921F191E
	s_mov_b32 s18, s31                                         // 000000002BA0: BE92001F
	s_cmp_lt_u32 s54, 1                                        // 000000002BA4: BF0A8136
	s_cbranch_scc0 label_008A                                  // 000000002BA8: BF84001F
	v_and_b32_e64 v12, v0, 15                                  // 000000002BAC: D113000C 00011F00
	v_mul_lo_u32 v12, v12, s30                                 // 000000002BB4: D285000C 00003D0C
	v_lshrrev_b32_e32 v4, 4, v0                                // 000000002BBC: 20080084
	v_mul_i32_i24_e32 v4, 16, v4                               // 000000002BC0: 0C080890
	v_add_u32_e32 v12, v4, v12                                 // 000000002BC4: 68181904
	s_mul_i32 s31, s23, 0x50                                   // 000000002BC8: 921FFF17 00000050
	s_mul_i32 s31, s31, s30                                    // 000000002BD0: 921F1E1F
	v_add_u32_e32 v12, s31, v12                                // 000000002BD4: 6818181F
	s_mul_i32 s31, s22, 64                                     // 000000002BD8: 921FC016
	s_mul_i32 s31, s31, 4                                      // 000000002BDC: 921F841F
	v_add_u32_e32 v12, s31, v12                                // 000000002BE0: 6818181F
	s_mul_i32 s31, 64, s24                                     // 000000002BE4: 921F18C0
	v_add_u32_e32 v12, s31, v12                                // 000000002BE8: 6818181F
	s_mul_i32 s31, 16, s30                                     // 000000002BEC: 921F1E90
	v_add_u32_e32 v13, s31, v12                                // 000000002BF0: 681A181F
	v_add_u32_e32 v14, s31, v13                                // 000000002BF4: 681C1A1F
	v_add_u32_e32 v15, s31, v14                                // 000000002BF8: 681E1C1F
	v_add_u32_e32 v16, s31, v15                                // 000000002BFC: 68201E1F
	s_mul_i32 s31, s23, 0x50                                   // 000000002C00: 921FFF17 00000050
	s_add_i32 s31, s31, s24                                    // 000000002C08: 811F181F
	s_mul_i32 s31, s31, s30                                    // 000000002C0C: 921F1E1F
	s_mul_i32 s32, s22, 64                                     // 000000002C10: 9220C016
	s_mul_i32 s32, s32, 4                                      // 000000002C14: 92208420
	s_add_i32 s31, s31, s32                                    // 000000002C18: 811F201F
	v_lshlrev_b32_e32 v17, 2, v0                               // 000000002C1C: 24220082
	v_add_u32_e32 v17, s31, v17                                // 000000002C20: 6822221F
	s_branch label_00AE                                        // 000000002C24: BF820024

0000000000002c28 <label_008A>:
	v_and_b32_e64 v12, v0, 15                                  // 000000002C28: D113000C 00011F00
	v_mul_lo_u32 v12, v12, s30                                 // 000000002C30: D285000C 00003D0C
	v_lshrrev_b32_e32 v4, 4, v0                                // 000000002C38: 20080084
	v_mul_i32_i24_e32 v4, 8, v4                                // 000000002C3C: 0C080888
	v_add_u32_e32 v12, v4, v12                                 // 000000002C40: 68181904
	s_mul_i32 s31, s23, 0x50                                   // 000000002C44: 921FFF17 00000050
	s_mul_i32 s31, s31, s30                                    // 000000002C4C: 921F1E1F
	v_add_u32_e32 v12, s31, v12                                // 000000002C50: 6818181F
	s_mul_i32 s31, s22, 64                                     // 000000002C54: 921FC016
	s_mul_i32 s31, s31, 2                                      // 000000002C58: 921F821F
	v_add_u32_e32 v12, s31, v12                                // 000000002C5C: 6818181F
	s_mul_i32 s31, 32, s24                                     // 000000002C60: 921F18A0
	v_add_u32_e32 v12, s31, v12                                // 000000002C64: 6818181F
	s_mul_i32 s31, 16, s30                                     // 000000002C68: 921F1E90
	v_add_u32_e32 v13, s31, v12                                // 000000002C6C: 681A181F
	v_add_u32_e32 v14, s31, v13                                // 000000002C70: 681C1A1F
	v_add_u32_e32 v15, s31, v14                                // 000000002C74: 681E1C1F
	v_add_u32_e32 v16, s31, v15                                // 000000002C78: 68201E1F
	s_mul_i32 s31, s23, 0x50                                   // 000000002C7C: 921FFF17 00000050
	s_add_i32 s31, s31, s24                                    // 000000002C84: 811F181F
	s_mul_i32 s31, s31, s30                                    // 000000002C88: 921F1E1F
	s_mul_i32 s32, s22, 64                                     // 000000002C8C: 9220C016
	s_mul_i32 s32, s32, 2                                      // 000000002C90: 92208220
	s_add_i32 s31, s31, s32                                    // 000000002C94: 811F201F
	v_lshrrev_b32_e32 v4, 5, v0                                // 000000002C98: 20080085
	s_mul_i32 s32, s30, 4                                      // 000000002C9C: 9220841E
	v_mul_lo_u32 v4, v4, s32                                   // 000000002CA0: D2850004 00004104
	v_and_b32_e32 v5, 31, v0                                   // 000000002CA8: 260A009F
	v_lshlrev_b32_e32 v5, 2, v5                                // 000000002CAC: 240A0A82
	v_add_u32_e32 v17, v4, v5                                  // 000000002CB0: 68220B04
	v_add_u32_e32 v17, s31, v17                                // 000000002CB4: 6822221F

0000000000002cb8 <label_00AE>:
	s_cmp_eq_u32 s53, 0                                        // 000000002CB8: BF068035
	s_cbranch_scc0 label_00D2                                  // 000000002CBC: BF840022
	s_mov_b32 s31, 0                                           // 000000002CC0: BE9F0080

0000000000002cc4 <label_00B1>:
	s_waitcnt lgkmcnt(0)                                       // 000000002CC4: BF8CC07F
	s_cmp_eq_u32 s63, s31                                      // 000000002CC8: BF061F3F
	s_cbranch_scc1 label_00B7                                  // 000000002CCC: BF850003
	s_load_dword s63, s[40:41], s62 glc                        // 000000002CD0: C0010FD4 0000003E
	s_branch label_00B1                                        // 000000002CD8: BF82FFFA

0000000000002cdc <label_00B7>:
	v_mov_b32_e32 v60, 0                                       // 000000002CDC: 7E780280
	v_mov_b32_e32 v61, 0                                       // 000000002CE0: 7E7A0280
	v_mov_b32_e32 v62, 0                                       // 000000002CE4: 7E7C0280
	v_mov_b32_e32 v63, 0                                       // 000000002CE8: 7E7E0280
	s_cmp_lt_u32 s54, 1                                        // 000000002CEC: BF0A8136
	s_cbranch_scc0 label_00C8                                  // 000000002CF0: BF84000B
	buffer_store_dwordx4 v[60:63], v12, s[16:19], 0 offen sc0 nt sc1// 000000002CF4: E07ED000 80043C0C
	buffer_store_dwordx4 v[60:63], v13, s[16:19], 0 offen sc0 nt sc1// 000000002CFC: E07ED000 80043C0D
	buffer_store_dwordx4 v[60:63], v14, s[16:19], 0 offen sc0 nt sc1// 000000002D04: E07ED000 80043C0E
	buffer_store_dwordx4 v[60:63], v15, s[16:19], 0 offen sc0 nt sc1// 000000002D0C: E07ED000 80043C0F
	buffer_store_dwordx4 v[60:63], v16, s[16:19], 0 offen sc0 nt sc1// 000000002D14: E07ED000 80043C10
	s_branch label_00D2                                        // 000000002D1C: BF82000A

0000000000002d20 <label_00C8>:
	buffer_store_dwordx2 v[60:61], v12, s[16:19], 0 offen sc0 nt sc1// 000000002D20: E076D000 80043C0C
	buffer_store_dwordx2 v[60:61], v13, s[16:19], 0 offen sc0 nt sc1// 000000002D28: E076D000 80043C0D
	buffer_store_dwordx2 v[60:61], v14, s[16:19], 0 offen sc0 nt sc1// 000000002D30: E076D000 80043C0E
	buffer_store_dwordx2 v[60:61], v15, s[16:19], 0 offen sc0 nt sc1// 000000002D38: E076D000 80043C0F
	buffer_store_dwordx2 v[60:61], v16, s[16:19], 0 offen sc0 nt sc1// 000000002D40: E076D000 80043C10

0000000000002d48 <label_00D2>:
	s_mul_i32 s31, s28, s25                                    // 000000002D48: 921F191C
	s_mov_b32 s6, s31                                          // 000000002D4C: BE86001F
	s_mov_b32 s44, 0x80                                        // 000000002D50: BEAC00FF 00000080
	v_lshrrev_b32_e32 v4, 5, v0                                // 000000002D58: 20080085
	v_lshlrev_b32_e32 v4, 2, v4                                // 000000002D5C: 24080882
	v_mul_lo_u32 v18, v4, s28                                  // 000000002D60: D2850012 00003904
	v_and_b32_e32 v4, 31, v0                                   // 000000002D68: 2608009F
	v_lshlrev_b32_e32 v4, 2, v4                                // 000000002D6C: 24080882
	v_add_u32_e32 v18, v18, v4                                 // 000000002D70: 68240912
	s_mul_i32 s31, 8, s28                                      // 000000002D74: 921F1C88
	v_add_u32_e64 v19, v18, s31                                // 000000002D78: D1340013 00003F12
	v_add_u32_e64 v20, v19, s31                                // 000000002D80: D1340014 00003F13
	v_add_u32_e64 v21, v20, s31                                // 000000002D88: D1340015 00003F14
	v_add_u32_e64 v22, v21, s31                                // 000000002D90: D1340016 00003F15
	v_add_u32_e64 v23, v22, s31                                // 000000002D98: D1340017 00003F16
	v_add_u32_e64 v24, v23, s31                                // 000000002DA0: D1340018 00003F17
	v_add_u32_e64 v25, v24, s31                                // 000000002DA8: D1340019 00003F18
	v_add_u32_e64 v26, v25, s31                                // 000000002DB0: D134001A 00003F19
	v_add_u32_e64 v27, v26, s31                                // 000000002DB8: D134001B 00003F1A
	s_mul_i32 s31, s23, 0x50                                   // 000000002DC0: 921FFF17 00000050
	s_add_u32 s31, s31, s24                                    // 000000002DC8: 801F181F
	s_mul_i32 s32, s31, s28                                    // 000000002DCC: 92201C1F
	v_add_u32_e64 v18, v18, s32                                // 000000002DD0: D1340012 00004112
	v_add_u32_e64 v19, v19, s32                                // 000000002DD8: D1340013 00004113
	v_add_u32_e64 v20, v20, s32                                // 000000002DE0: D1340014 00004114
	v_add_u32_e64 v21, v21, s32                                // 000000002DE8: D1340015 00004115
	v_add_u32_e64 v22, v22, s32                                // 000000002DF0: D1340016 00004116
	v_add_u32_e64 v23, v23, s32                                // 000000002DF8: D1340017 00004117
	v_add_u32_e64 v24, v24, s32                                // 000000002E00: D1340018 00004118
	v_add_u32_e64 v25, v25, s32                                // 000000002E08: D1340019 00004119
	v_add_u32_e64 v26, v26, s32                                // 000000002E10: D134001A 0000411A
	v_add_u32_e64 v27, v27, s32                                // 000000002E18: D134001B 0000411B
	v_lshrrev_b32_e32 v4, 4, v0                                // 000000002E20: 20080084
	v_lshlrev_b32_e32 v5, 2, v4                                // 000000002E24: 240A0882
	v_and_b32_e32 v4, 15, v0                                   // 000000002E28: 2608008F
	v_lshrrev_b32_e32 v6, 2, v4                                // 000000002E2C: 200C0882
	v_lshlrev_b32_e32 v6, 5, v6                                // 000000002E30: 240C0C85
	v_add_u32_e32 v5, v6, v5                                   // 000000002E34: 680A0B06
	v_and_b32_e32 v4, 3, v0                                    // 000000002E38: 26080083
	v_mul_u32_u24_e32 v6, 0x288, v4                            // 000000002E3C: 100C08FF 00000288
	v_add_u32_e32 v5, v6, v5                                   // 000000002E44: 680A0B06
	v_lshlrev_b32_e32 v28, 2, v5                               // 000000002E48: 24380A82
	s_mul_i32 s31, s24, 0xa20                                  // 000000002E4C: 921FFF18 00000A20
	s_add_u32 s46, 0, s31                                      // 000000002E54: 802E1F80
	s_add_u32 s47, 0x2880, s46                                 // 000000002E58: 802F2EFF 00002880
	s_add_u32 s48, 0x2880, s47                                 // 000000002E60: 80302FFF 00002880
	s_mul_i32 s31, s29, s26                                    // 000000002E68: 921F1A1D
	s_mov_b32 s10, s31                                         // 000000002E6C: BE8A001F
	s_mov_b32 s45, 0x80                                        // 000000002E70: BEAD00FF 00000080
	v_lshrrev_b32_e32 v4, 5, v0                                // 000000002E78: 20080085
	v_lshlrev_b32_e32 v4, 2, v4                                // 000000002E7C: 24080882
	v_mul_lo_u32 v29, v4, s29                                  // 000000002E80: D285001D 00003B04
	v_and_b32_e32 v4, 31, v0                                   // 000000002E88: 2608009F
	v_lshlrev_b32_e32 v4, 2, v4                                // 000000002E8C: 24080882
	v_add_u32_e32 v29, v29, v4                                 // 000000002E90: 683A091D
	s_mul_i32 s31, 8, s29                                      // 000000002E94: 921F1D88
	v_add_u32_e64 v30, v29, s31                                // 000000002E98: D134001E 00003F1D
	v_add_u32_e64 v31, v30, s31                                // 000000002EA0: D134001F 00003F1E
	v_add_u32_e64 v32, v31, s31                                // 000000002EA8: D1340020 00003F1F
	v_add_u32_e64 v33, v32, s31                                // 000000002EB0: D1340021 00003F20
	v_add_u32_e64 v34, v33, s31                                // 000000002EB8: D1340022 00003F21
	v_add_u32_e64 v35, v34, s31                                // 000000002EC0: D1340023 00003F22
	v_add_u32_e64 v36, v35, s31                                // 000000002EC8: D1340024 00003F23
	s_mul_i32 s31, s22, 64                                     // 000000002ED0: 921FC016
	s_add_u32 s31, s31, s24                                    // 000000002ED4: 801F181F
	s_mul_i32 s32, s31, s29                                    // 000000002ED8: 92201D1F
	v_add_u32_e64 v29, v29, s32                                // 000000002EDC: D134001D 0000411D
	v_add_u32_e64 v30, v30, s32                                // 000000002EE4: D134001E 0000411E
	v_add_u32_e64 v31, v31, s32                                // 000000002EEC: D134001F 0000411F
	v_add_u32_e64 v32, v32, s32                                // 000000002EF4: D1340020 00004120
	v_add_u32_e64 v33, v33, s32                                // 000000002EFC: D1340021 00004121
	v_add_u32_e64 v34, v34, s32                                // 000000002F04: D1340022 00004122
	v_add_u32_e64 v35, v35, s32                                // 000000002F0C: D1340023 00004123
	v_add_u32_e64 v36, v36, s32                                // 000000002F14: D1340024 00004124
	s_cmp_le_u32 s52, 1                                        // 000000002F1C: BF0B8134
	s_cbranch_scc1 label_0196                                  // 000000002F20: BF85004D
	s_lshr_b32 s32, s27, 6                                     // 000000002F24: 8F20861B
	v_cvt_f32_u32_e32 v4, s52                                  // 000000002F28: 7E080C34
	s_sub_i32 s31, 0, s52                                      // 000000002F2C: 819F3480
	v_rcp_iflag_f32_e32 v4, v4                                 // 000000002F30: 7E084704
	s_nop 0                                                    // 000000002F34: BF800000
	v_mul_f32_e32 v4, 0x4f7ffffe, v4                           // 000000002F38: 0A0808FF 4F7FFFFE
	v_cvt_u32_f32_e32 v4, v4                                   // 000000002F40: 7E080F04
	v_mul_lo_u32 v5, s31, v4                                   // 000000002F44: D2850005 0002081F
	v_mul_hi_u32 v5, v4, v5                                    // 000000002F4C: D2860005 00020B04
	v_add_u32_e32 v4, v4, v5                                   // 000000002F54: 68080B04
	v_mul_hi_u32 v4, s32, v4                                   // 000000002F58: D2860004 00020820
	v_mul_lo_u32 v5, v4, s52                                   // 000000002F60: D2850005 00006904
	v_sub_u32_e32 v7, s32, v5                                  // 000000002F68: 6A0E0A20
	v_add_u32_e32 v6, 1, v4                                    // 000000002F6C: 680C0881
	v_cmp_le_u32_e32 vcc, s52, v7                              // 000000002F70: 7D960E34
	v_subrev_u32_e32 v5, s52, v7                               // 000000002F74: 6C0A0E34
	s_nop 0                                                    // 000000002F78: BF800000
	v_cndmask_b32_e32 v4, v4, v6, vcc                          // 000000002F7C: 00080D04
	v_cndmask_b32_e32 v7, v7, v5, vcc                          // 000000002F80: 000E0B07
	v_add_u32_e32 v5, 1, v4                                    // 000000002F84: 680A0881
	v_cmp_le_u32_e32 vcc, s52, v7                              // 000000002F88: 7D960E34
	s_nop 1                                                    // 000000002F8C: BF800001
	v_cndmask_b32_e32 v7, v4, v5, vcc                          // 000000002F90: 000E0B04
	s_nop 3                                                    // 000000002F94: BF800003
	v_readfirstlane_b32 s32, v7                                // 000000002F98: 7E400507
	s_nop 3                                                    // 000000002F9C: BF800003
	s_mul_i32 s32, s32, 64                                     // 000000002FA0: 9220C020
	s_mul_i32 s31, s53, s32                                    // 000000002FA4: 921F2035
	s_sub_i32 s56, s27, s31                                    // 000000002FA8: 81B81F1B
	s_sub_i32 s31, s52, 1                                      // 000000002FAC: 819F8134
	s_cmp_eq_i32 s53, s31                                      // 000000002FB0: BF001F35
	s_cselect_b32 s27, s56, s32                                // 000000002FB4: 851B2038
	s_mul_i32 s31, s32, 2                                      // 000000002FB8: 921F8220
	s_mul_i32 s31, s31, s53                                    // 000000002FBC: 921F351F
	v_add_u32_e64 v18, v18, s31                                // 000000002FC0: D1340012 00003F12
	v_add_u32_e64 v19, v19, s31                                // 000000002FC8: D1340013 00003F13
	v_add_u32_e64 v20, v20, s31                                // 000000002FD0: D1340014 00003F14
	v_add_u32_e64 v21, v21, s31                                // 000000002FD8: D1340015 00003F15
	v_add_u32_e64 v22, v22, s31                                // 000000002FE0: D1340016 00003F16
	v_add_u32_e64 v23, v23, s31                                // 000000002FE8: D1340017 00003F17
	v_add_u32_e64 v24, v24, s31                                // 000000002FF0: D1340018 00003F18
	v_add_u32_e64 v25, v25, s31                                // 000000002FF8: D1340019 00003F19
	v_add_u32_e64 v26, v26, s31                                // 000000003000: D134001A 00003F1A
	v_add_u32_e64 v27, v27, s31                                // 000000003008: D134001B 00003F1B
	s_mul_i32 s31, s32, 2                                      // 000000003010: 921F8220
	s_mul_i32 s31, s31, s53                                    // 000000003014: 921F351F
	v_add_u32_e64 v29, v29, s31                                // 000000003018: D134001D 00003F1D
	v_add_u32_e64 v30, v30, s31                                // 000000003020: D134001E 00003F1E
	v_add_u32_e64 v31, v31, s31                                // 000000003028: D134001F 00003F1F
	v_add_u32_e64 v32, v32, s31                                // 000000003030: D1340020 00003F20
	v_add_u32_e64 v33, v33, s31                                // 000000003038: D1340021 00003F21
	v_add_u32_e64 v34, v34, s31                                // 000000003040: D1340022 00003F22
	v_add_u32_e64 v35, v35, s31                                // 000000003048: D1340023 00003F23
	v_add_u32_e64 v36, v36, s31                                // 000000003050: D1340024 00003F24

0000000000003058 <label_0196>:
	v_lshrrev_b32_e32 v4, 4, v0                                // 000000003058: 20080084
	v_lshlrev_b32_e32 v5, 2, v4                                // 00000000305C: 240A0882
	v_and_b32_e32 v4, 15, v0                                   // 000000003060: 2608008F
	v_lshrrev_b32_e32 v6, 2, v4                                // 000000003064: 200C0882
	v_lshlrev_b32_e32 v6, 5, v6                                // 000000003068: 240C0C85
	v_add_u32_e32 v5, v6, v5                                   // 00000000306C: 680A0B06
	v_and_b32_e32 v4, 3, v0                                    // 000000003070: 26080083
	v_mul_u32_u24_e32 v6, 0x208, v4                            // 000000003074: 100C08FF 00000208
	v_add_u32_e32 v5, v6, v5                                   // 00000000307C: 680A0B06
	v_lshlrev_b32_e32 v37, 2, v5                               // 000000003080: 244A0A82
	s_mul_i32 s31, s24, 0x200                                  // 000000003084: 921FFF18 00000200
	v_add_u32_e32 v37, s31, v37                                // 00000000308C: 684A4A1F
	s_mul_i32 s31, s24, 0x820                                  // 000000003090: 921FFF18 00000820
	s_add_u32 s49, 0x7980, s31                                 // 000000003098: 80311FFF 00007980
	s_add_u32 s50, 0x2080, s49                                 // 0000000030A0: 803231FF 00002080
	s_add_u32 s51, 0x2080, s50                                 // 0000000030A8: 803332FF 00002080
	s_cmp_eq_u32 s61, 1                                        // 0000000030B0: BF06813D
	s_cbranch_scc0 label_01E3                                  // 0000000030B4: BF840035
	s_cmp_eq_i32 s53, 0                                        // 0000000030B8: BF008035
	s_cbranch_scc0 label_01E3                                  // 0000000030BC: BF840033
	s_mul_i32 s31, 2, s26                                      // 0000000030C0: 921F1A82
	s_mov_b32 s38, s31                                         // 0000000030C4: BEA6001F
	v_lshrrev_b32_e32 v4, 4, v0                                // 0000000030C8: 20080084
	v_mul_i32_i24_e32 v70, 8, v4                               // 0000000030CC: 0C8C0888
	s_mul_i32 s31, 32, s24                                     // 0000000030D0: 921F18A0
	v_add_u32_e32 v70, s31, v70                                // 0000000030D4: 688C8C1F
	s_mul_i32 s32, s22, 64                                     // 0000000030D8: 9220C016
	s_mul_i32 s32, s32, 2                                      // 0000000030DC: 92208220
	v_add_u32_e32 v70, s32, v70                                // 0000000030E0: 688C8C20
	v_mov_b32_e32 v72, 0                                       // 0000000030E4: 7E900280
	v_mov_b32_e32 v73, 0                                       // 0000000030E8: 7E920280
	buffer_load_dwordx2 v[72:73], v70, s[36:39], 0 offen       // 0000000030EC: E0541000 80094846
	s_waitcnt vmcnt(0)                                         // 0000000030F4: BF8C0F70
	v_mov_b32_e32 v4, 0xffff0000                               // 0000000030F8: 7E0802FF FFFF0000
	v_and_b32_e32 v4, v72, v4                                  // 000000003100: 26080948
	v_mov_b32_e32 v5, 0xffff                                   // 000000003104: 7E0A02FF 0000FFFF
	v_and_b32_e32 v5, v72, v5                                  // 00000000310C: 260A0B48
	v_mov_b32_e32 v75, v4                                      // 000000003110: 7E960304
	v_lshlrev_b32_e32 v74, 16, v5                              // 000000003114: 24940A90
	v_mov_b32_e32 v4, 0xffff0000                               // 000000003118: 7E0802FF FFFF0000
	v_and_b32_e32 v4, v73, v4                                  // 000000003120: 26080949
	v_mov_b32_e32 v5, 0xffff                                   // 000000003124: 7E0A02FF 0000FFFF
	v_and_b32_e32 v5, v73, v5                                  // 00000000312C: 260A0B49
	v_mov_b32_e32 v77, v4                                      // 000000003130: 7E9A0304
	v_lshlrev_b32_e32 v76, 16, v5                              // 000000003134: 24980A90
	v_mov_b32_e32 v40, v74                                     // 000000003138: 7E50034A
	v_mov_b32_e32 v41, v75                                     // 00000000313C: 7E52034B
	v_mov_b32_e32 v42, v76                                     // 000000003140: 7E54034C
	v_mov_b32_e32 v43, v77                                     // 000000003144: 7E56034D
	v_mov_b32_e32 v44, v74                                     // 000000003148: 7E58034A
	v_mov_b32_e32 v45, v75                                     // 00000000314C: 7E5A034B
	v_mov_b32_e32 v46, v76                                     // 000000003150: 7E5C034C
	v_mov_b32_e32 v47, v77                                     // 000000003154: 7E5E034D
	v_mov_b32_e32 v48, v74                                     // 000000003158: 7E60034A
	v_mov_b32_e32 v49, v75                                     // 00000000315C: 7E62034B
	v_mov_b32_e32 v50, v76                                     // 000000003160: 7E64034C
	v_mov_b32_e32 v51, v77                                     // 000000003164: 7E66034D
	v_mov_b32_e32 v52, v74                                     // 000000003168: 7E68034A
	v_mov_b32_e32 v53, v75                                     // 00000000316C: 7E6A034B
	v_mov_b32_e32 v54, v76                                     // 000000003170: 7E6C034C
	v_mov_b32_e32 v55, v77                                     // 000000003174: 7E6E034D
	v_mov_b32_e32 v56, v74                                     // 000000003178: 7E70034A
	v_mov_b32_e32 v57, v75                                     // 00000000317C: 7E72034B
	v_mov_b32_e32 v58, v76                                     // 000000003180: 7E74034C
	v_mov_b32_e32 v59, v77                                     // 000000003184: 7E76034D
	s_branch label_01F7                                        // 000000003188: BF820014

000000000000318c <label_01E3>:
	v_mov_b32_e32 v40, 0                                       // 00000000318C: 7E500280
	v_mov_b32_e32 v41, 0                                       // 000000003190: 7E520280
	v_mov_b32_e32 v42, 0                                       // 000000003194: 7E540280
	v_mov_b32_e32 v43, 0                                       // 000000003198: 7E560280
	v_mov_b32_e32 v44, 0                                       // 00000000319C: 7E580280
	v_mov_b32_e32 v45, 0                                       // 0000000031A0: 7E5A0280
	v_mov_b32_e32 v46, 0                                       // 0000000031A4: 7E5C0280
	v_mov_b32_e32 v47, 0                                       // 0000000031A8: 7E5E0280
	v_mov_b32_e32 v48, 0                                       // 0000000031AC: 7E600280
	v_mov_b32_e32 v49, 0                                       // 0000000031B0: 7E620280
	v_mov_b32_e32 v50, 0                                       // 0000000031B4: 7E640280
	v_mov_b32_e32 v51, 0                                       // 0000000031B8: 7E660280
	v_mov_b32_e32 v52, 0                                       // 0000000031BC: 7E680280
	v_mov_b32_e32 v53, 0                                       // 0000000031C0: 7E6A0280
	v_mov_b32_e32 v54, 0                                       // 0000000031C4: 7E6C0280
	v_mov_b32_e32 v55, 0                                       // 0000000031C8: 7E6E0280
	v_mov_b32_e32 v56, 0                                       // 0000000031CC: 7E700280
	v_mov_b32_e32 v57, 0                                       // 0000000031D0: 7E720280
	v_mov_b32_e32 v58, 0                                       // 0000000031D4: 7E740280
	v_mov_b32_e32 v59, 0                                       // 0000000031D8: 7E760280

00000000000031dc <label_01F7>:
	s_add_u32 m0, 0, s46                                       // 0000000031DC: 807C2E80
	buffer_load_dword v18, s[4:7], 0 offen lds                 // 0000000031E0: E0511000 80010012
	s_add_u32 m0, 0x100, s46                                   // 0000000031E8: 807C2EFF 00000100
	buffer_load_dword v19, s[4:7], 0 offen lds                 // 0000000031F0: E0511000 80010013
	s_add_u32 m0, 0x200, s46                                   // 0000000031F8: 807C2EFF 00000200
	buffer_load_dword v20, s[4:7], 0 offen lds                 // 000000003200: E0511000 80010014
	s_add_u32 m0, 0x300, s46                                   // 000000003208: 807C2EFF 00000300
	buffer_load_dword v21, s[4:7], 0 offen lds                 // 000000003210: E0511000 80010015
	s_add_u32 m0, 0x400, s46                                   // 000000003218: 807C2EFF 00000400
	;; [unrolled: 2-line block ×6, first 2 shown]
	buffer_load_dword v26, s[4:7], 0 offen lds                 // 000000003260: E0511000 8001001A
	s_add_u32 m0, 0x900, s46                                   // 000000003268: 807C2EFF 00000900
	buffer_load_dword v27, s[4:7], 0 offen lds                 // 000000003270: E0511000 8001001B
	s_add_u32 s4, s44, s4                                      // 000000003278: 8004042C
	s_addc_u32 s5, 0, s5                                       // 00000000327C: 82050580
	s_sub_u32 s6, s6, s44                                      // 000000003280: 80862C06
	s_add_u32 m0, 0, s49                                       // 000000003284: 807C3180
	buffer_load_dword v29, s[8:11], 0 offen lds                // 000000003288: E0511000 8002001D
	s_add_u32 m0, 0x100, s49                                   // 000000003290: 807C31FF 00000100
	buffer_load_dword v30, s[8:11], 0 offen lds                // 000000003298: E0511000 8002001E
	s_add_u32 m0, 0x200, s49                                   // 0000000032A0: 807C31FF 00000200
	buffer_load_dword v31, s[8:11], 0 offen lds                // 0000000032A8: E0511000 8002001F
	s_add_u32 m0, 0x300, s49                                   // 0000000032B0: 807C31FF 00000300
	buffer_load_dword v32, s[8:11], 0 offen lds                // 0000000032B8: E0511000 80020020
	s_add_u32 m0, 0x400, s49                                   // 0000000032C0: 807C31FF 00000400
	buffer_load_dword v33, s[8:11], 0 offen lds                // 0000000032C8: E0511000 80020021
	s_add_u32 m0, 0x500, s49                                   // 0000000032D0: 807C31FF 00000500
	buffer_load_dword v34, s[8:11], 0 offen lds                // 0000000032D8: E0511000 80020022
	s_add_u32 m0, 0x600, s49                                   // 0000000032E0: 807C31FF 00000600
	buffer_load_dword v35, s[8:11], 0 offen lds                // 0000000032E8: E0511000 80020023
	s_add_u32 m0, 0x700, s49                                   // 0000000032F0: 807C31FF 00000700
	buffer_load_dword v36, s[8:11], 0 offen lds                // 0000000032F8: E0511000 80020024
	s_add_u32 s8, s45, s8                                      // 000000003300: 8008082D
	s_addc_u32 s9, 0, s9                                       // 000000003304: 82090980
	s_sub_u32 s10, s10, s45                                    // 000000003308: 808A2D0A
	s_add_u32 m0, 0, s47                                       // 00000000330C: 807C2F80
	buffer_load_dword v18, s[4:7], 0 offen lds                 // 000000003310: E0511000 80010012
	s_add_u32 m0, 0x100, s47                                   // 000000003318: 807C2FFF 00000100
	buffer_load_dword v19, s[4:7], 0 offen lds                 // 000000003320: E0511000 80010013
	s_add_u32 m0, 0x200, s47                                   // 000000003328: 807C2FFF 00000200
	;; [unrolled: 2-line block ×8, first 2 shown]
	buffer_load_dword v26, s[4:7], 0 offen lds                 // 000000003390: E0511000 8001001A
	s_add_u32 m0, 0x900, s47                                   // 000000003398: 807C2FFF 00000900
	buffer_load_dword v27, s[4:7], 0 offen lds                 // 0000000033A0: E0511000 8001001B
	s_add_u32 s4, s44, s4                                      // 0000000033A8: 8004042C
	s_addc_u32 s5, 0, s5                                       // 0000000033AC: 82050580
	s_sub_u32 s6, s6, s44                                      // 0000000033B0: 80862C06
	s_add_u32 m0, 0, s50                                       // 0000000033B4: 807C3280
	buffer_load_dword v29, s[8:11], 0 offen lds                // 0000000033B8: E0511000 8002001D
	s_add_u32 m0, 0x100, s50                                   // 0000000033C0: 807C32FF 00000100
	buffer_load_dword v30, s[8:11], 0 offen lds                // 0000000033C8: E0511000 8002001E
	s_add_u32 m0, 0x200, s50                                   // 0000000033D0: 807C32FF 00000200
	buffer_load_dword v31, s[8:11], 0 offen lds                // 0000000033D8: E0511000 8002001F
	s_add_u32 m0, 0x300, s50                                   // 0000000033E0: 807C32FF 00000300
	buffer_load_dword v32, s[8:11], 0 offen lds                // 0000000033E8: E0511000 80020020
	s_add_u32 m0, 0x400, s50                                   // 0000000033F0: 807C32FF 00000400
	buffer_load_dword v33, s[8:11], 0 offen lds                // 0000000033F8: E0511000 80020021
	s_add_u32 m0, 0x500, s50                                   // 000000003400: 807C32FF 00000500
	buffer_load_dword v34, s[8:11], 0 offen lds                // 000000003408: E0511000 80020022
	s_add_u32 m0, 0x600, s50                                   // 000000003410: 807C32FF 00000600
	buffer_load_dword v35, s[8:11], 0 offen lds                // 000000003418: E0511000 80020023
	;; [unrolled: 2-line block ×3, first 2 shown]
	s_add_u32 s8, s45, s8                                      // 000000003430: 8008082D
	s_addc_u32 s9, 0, s9                                       // 000000003434: 82090980
	s_sub_u32 s10, s10, s45                                    // 000000003438: 808A2D0A
	s_add_u32 m0, 0, s48                                       // 00000000343C: 807C3080
	buffer_load_dword v18, s[4:7], 0 offen lds                 // 000000003440: E0511000 80010012
	s_add_u32 m0, 0x100, s48                                   // 000000003448: 807C30FF 00000100
	buffer_load_dword v19, s[4:7], 0 offen lds                 // 000000003450: E0511000 80010013
	s_add_u32 m0, 0x200, s48                                   // 000000003458: 807C30FF 00000200
	;; [unrolled: 2-line block ×6, first 2 shown]
	buffer_load_dword v24, s[4:7], 0 offen lds                 // 0000000034A0: E0511000 80010018
	s_add_u32 m0, 0x700, s48                                   // 0000000034A8: 807C30FF 00000700
	buffer_load_dword v25, s[4:7], 0 offen lds                 // 0000000034B0: E0511000 80010019
	s_add_u32 m0, 0x800, s48                                   // 0000000034B8: 807C30FF 00000800
	buffer_load_dword v26, s[4:7], 0 offen lds                 // 0000000034C0: E0511000 8001001A
	s_add_u32 m0, 0x900, s48                                   // 0000000034C8: 807C30FF 00000900
	buffer_load_dword v27, s[4:7], 0 offen lds                 // 0000000034D0: E0511000 8001001B
	s_add_u32 s4, s44, s4                                      // 0000000034D8: 8004042C
	s_addc_u32 s5, 0, s5                                       // 0000000034DC: 82050580
	s_sub_u32 s6, s6, s44                                      // 0000000034E0: 80862C06
	s_add_u32 m0, 0, s51                                       // 0000000034E4: 807C3380
	buffer_load_dword v29, s[8:11], 0 offen lds                // 0000000034E8: E0511000 8002001D
	s_add_u32 m0, 0x100, s51                                   // 0000000034F0: 807C33FF 00000100
	buffer_load_dword v30, s[8:11], 0 offen lds                // 0000000034F8: E0511000 8002001E
	s_add_u32 m0, 0x200, s51                                   // 000000003500: 807C33FF 00000200
	buffer_load_dword v31, s[8:11], 0 offen lds                // 000000003508: E0511000 8002001F
	s_add_u32 m0, 0x300, s51                                   // 000000003510: 807C33FF 00000300
	buffer_load_dword v32, s[8:11], 0 offen lds                // 000000003518: E0511000 80020020
	s_add_u32 m0, 0x400, s51                                   // 000000003520: 807C33FF 00000400
	buffer_load_dword v33, s[8:11], 0 offen lds                // 000000003528: E0511000 80020021
	;; [unrolled: 2-line block ×5, first 2 shown]
	s_add_u32 s8, s45, s8                                      // 000000003560: 8008082D
	s_addc_u32 s9, 0, s9                                       // 000000003564: 82090980
	s_sub_u32 s10, s10, s45                                    // 000000003568: 808A2D0A
	s_mov_b32 s34, s27                                         // 00000000356C: BEA2001B
	s_mov_b32 s33, 0                                           // 000000003570: BEA10080
	s_mul_i32 s31, s23, 0x50                                   // 000000003574: 921FFF17 00000050
	s_sub_i32 s55, s25, s31                                    // 00000000357C: 81B71F19
	s_waitcnt vmcnt(36)                                        // 000000003580: BF8C8F74
	s_barrier                                                  // 000000003584: BF8A0000
	s_waitcnt lgkmcnt(0)                                       // 000000003588: BF8CC07F
	s_or_b32 s31, s53, s24                                     // 00000000358C: 871F1835
	s_cmp_eq_u32 s31, 0                                        // 000000003590: BF06801F
	s_cbranch_scc0 label_02E8                                  // 000000003594: BF840002
	s_store_dword s52, s[40:41], s62 glc                       // 000000003598: C0410D14 0000003E

00000000000035a0 <label_02E8>:
	ds_read_b128 a[0:3], v28                                   // 0000000035A0: DBFE0000 0000001C
	ds_read_b128 a[4:7], v28 offset:64                         // 0000000035A8: DBFE0040 0400001C
	ds_read_b128 a[8:11], v28 offset:512                       // 0000000035B0: DBFE0200 0800001C
	ds_read_b128 a[12:15], v28 offset:576                      // 0000000035B8: DBFE0240 0C00001C
	ds_read_b128 a[16:19], v28 offset:1024                     // 0000000035C0: DBFE0400 1000001C
	ds_read_b128 a[20:23], v28 offset:1088                     // 0000000035C8: DBFE0440 1400001C
	ds_read_b128 a[24:27], v28 offset:1536                     // 0000000035D0: DBFE0600 1800001C
	ds_read_b128 a[28:31], v28 offset:1600                     // 0000000035D8: DBFE0640 1C00001C
	ds_read_b128 a[32:35], v28 offset:2048                     // 0000000035E0: DBFE0800 2000001C
	ds_read_b128 a[36:39], v28 offset:2112                     // 0000000035E8: DBFE0840 2400001C
	ds_read_b128 a[80:83], v37 offset:31104                    // 0000000035F0: DBFE7980 50000025
	ds_read_b128 a[84:87], v37 offset:31168                    // 0000000035F8: DBFE79C0 54000025
	s_cmp_lt_i32 s24, 2                                        // 000000003600: BF048218
	s_cbranch_scc0 label_068D                                  // 000000003604: BF84038B

0000000000003608 <label_0302>:
	s_waitcnt vmcnt(18) lgkmcnt(0)                             // 000000003608: BF8C4072
	s_barrier                                                  // 00000000360C: BF8A0000
	v_mfma_f32_16x16x16_bf16 v[40:43], a[80:81], a[0:1], v[40:43]// 000000003610: D3E10028 1CA20150
	s_add_u32 m0, 0, s46                                       // 000000003618: 807C2E80
	buffer_load_dword v18, s[4:7], 0 offen lds                 // 00000000361C: E0511000 80010012
	v_mfma_f32_16x16x16_bf16 v[40:43], a[82:83], a[2:3], v[40:43]// 000000003624: D3E10028 1CA20552
	s_add_u32 m0, 0x100, s46                                   // 00000000362C: 807C2EFF 00000100
	buffer_load_dword v19, s[4:7], 0 offen lds                 // 000000003634: E0511000 80010013
	ds_read_b128 a[40:43], v28 offset:10368                    // 00000000363C: DBFE2880 2800001C
	ds_read_b128 a[44:47], v28 offset:10432                    // 000000003644: DBFE28C0 2C00001C
	v_mfma_f32_16x16x16_bf16 v[40:43], a[84:85], a[4:5], v[40:43]// 00000000364C: D3E10028 1CA20954
	s_add_u32 m0, 0x200, s46                                   // 000000003654: 807C2EFF 00000200
	buffer_load_dword v20, s[4:7], 0 offen lds                 // 00000000365C: E0511000 80010014
	v_mfma_f32_16x16x16_bf16 v[40:43], a[86:87], a[6:7], v[40:43]// 000000003664: D3E10028 1CA20D56
	s_add_u32 m0, 0x300, s46                                   // 00000000366C: 807C2EFF 00000300
	buffer_load_dword v21, s[4:7], 0 offen lds                 // 000000003674: E0511000 80010015
	ds_read_b128 a[48:51], v28 offset:10880                    // 00000000367C: DBFE2A80 3000001C
	ds_read_b128 a[52:55], v28 offset:10944                    // 000000003684: DBFE2AC0 3400001C
	v_mfma_f32_16x16x16_bf16 v[44:47], a[80:81], a[8:9], v[44:47]// 00000000368C: D3E1002C 1CB21150
	s_add_u32 m0, 0x400, s46                                   // 000000003694: 807C2EFF 00000400
	buffer_load_dword v22, s[4:7], 0 offen lds                 // 00000000369C: E0511000 80010016
	v_mfma_f32_16x16x16_bf16 v[44:47], a[82:83], a[10:11], v[44:47]// 0000000036A4: D3E1002C 1CB21552
	s_add_u32 m0, 0x500, s46                                   // 0000000036AC: 807C2EFF 00000500
	buffer_load_dword v23, s[4:7], 0 offen lds                 // 0000000036B4: E0511000 80010017
	ds_read_b128 a[56:59], v28 offset:11392                    // 0000000036BC: DBFE2C80 3800001C
	ds_read_b128 a[60:63], v28 offset:11456                    // 0000000036C4: DBFE2CC0 3C00001C
	v_mfma_f32_16x16x16_bf16 v[44:47], a[84:85], a[12:13], v[44:47]// 0000000036CC: D3E1002C 1CB21954
	s_add_u32 m0, 0x600, s46                                   // 0000000036D4: 807C2EFF 00000600
	buffer_load_dword v24, s[4:7], 0 offen lds                 // 0000000036DC: E0511000 80010018
	v_mfma_f32_16x16x16_bf16 v[44:47], a[86:87], a[14:15], v[44:47]// 0000000036E4: D3E1002C 1CB21D56
	s_add_u32 m0, 0x700, s46                                   // 0000000036EC: 807C2EFF 00000700
	buffer_load_dword v25, s[4:7], 0 offen lds                 // 0000000036F4: E0511000 80010019
	ds_read_b128 a[64:67], v28 offset:11904                    // 0000000036FC: DBFE2E80 4000001C
	ds_read_b128 a[68:71], v28 offset:11968                    // 000000003704: DBFE2EC0 4400001C
	v_mfma_f32_16x16x16_bf16 v[48:51], a[80:81], a[16:17], v[48:51]// 00000000370C: D3E10030 1CC22150
	s_add_u32 m0, 0x800, s46                                   // 000000003714: 807C2EFF 00000800
	buffer_load_dword v26, s[4:7], 0 offen lds                 // 00000000371C: E0511000 8001001A
	v_mfma_f32_16x16x16_bf16 v[48:51], a[82:83], a[18:19], v[48:51]// 000000003724: D3E10030 1CC22552
	s_add_u32 m0, 0x900, s46                                   // 00000000372C: 807C2EFF 00000900
	buffer_load_dword v27, s[4:7], 0 offen lds                 // 000000003734: E0511000 8001001B
	ds_read_b128 a[72:75], v28 offset:12416                    // 00000000373C: DBFE3080 4800001C
	ds_read_b128 a[76:79], v28 offset:12480                    // 000000003744: DBFE30C0 4C00001C
	v_mfma_f32_16x16x16_bf16 v[48:51], a[84:85], a[20:21], v[48:51]// 00000000374C: D3E10030 1CC22954
	s_add_u32 s31, 0x100, s33                                  // 000000003754: 801F21FF 00000100
	s_cmp_lt_u32 s31, s34                                      // 00000000375C: BF0A221F
	s_cselect_b32 s44, s44, 0                                  // 000000003760: 852C802C
	s_add_u32 m0, 0, s49                                       // 000000003764: 807C3180
	buffer_load_dword v29, s[8:11], 0 offen lds                // 000000003768: E0511000 8002001D
	v_mfma_f32_16x16x16_bf16 v[48:51], a[86:87], a[22:23], v[48:51]// 000000003770: D3E10030 1CC22D56
	s_add_u32 m0, 0x100, s49                                   // 000000003778: 807C31FF 00000100
	buffer_load_dword v30, s[8:11], 0 offen lds                // 000000003780: E0511000 8002001E
	s_add_u32 s4, s44, s4                                      // 000000003788: 8004042C
	s_addc_u32 s5, 0, s5                                       // 00000000378C: 82050580
	ds_read_b128 a[88:91], v37 offset:39424                    // 000000003790: DBFE9A00 58000025
	ds_read_b128 a[92:95], v37 offset:39488                    // 000000003798: DBFE9A40 5C000025
	v_mfma_f32_16x16x16_bf16 v[52:55], a[80:81], a[24:25], v[52:55]// 0000000037A0: D3E10034 1CD23150
	s_add_u32 m0, 0x200, s49                                   // 0000000037A8: 807C31FF 00000200
	buffer_load_dword v31, s[8:11], 0 offen lds                // 0000000037B0: E0511000 8002001F
	v_mfma_f32_16x16x16_bf16 v[52:55], a[82:83], a[26:27], v[52:55]// 0000000037B8: D3E10034 1CD23552
	s_add_u32 m0, 0x300, s49                                   // 0000000037C0: 807C31FF 00000300
	buffer_load_dword v32, s[8:11], 0 offen lds                // 0000000037C8: E0511000 80020020
	v_mfma_f32_16x16x16_bf16 v[52:55], a[84:85], a[28:29], v[52:55]// 0000000037D0: D3E10034 1CD23954
	s_add_u32 m0, 0x400, s49                                   // 0000000037D8: 807C31FF 00000400
	buffer_load_dword v33, s[8:11], 0 offen lds                // 0000000037E0: E0511000 80020021
	v_mfma_f32_16x16x16_bf16 v[52:55], a[86:87], a[30:31], v[52:55]// 0000000037E8: D3E10034 1CD23D56
	s_add_u32 m0, 0x500, s49                                   // 0000000037F0: 807C31FF 00000500
	buffer_load_dword v34, s[8:11], 0 offen lds                // 0000000037F8: E0511000 80020022
	v_mfma_f32_16x16x16_bf16 v[56:59], a[80:81], a[32:33], v[56:59]// 000000003800: D3E10038 1CE24150
	s_add_u32 m0, 0x600, s49                                   // 000000003808: 807C31FF 00000600
	buffer_load_dword v35, s[8:11], 0 offen lds                // 000000003810: E0511000 80020023
	v_mfma_f32_16x16x16_bf16 v[56:59], a[82:83], a[34:35], v[56:59]// 000000003818: D3E10038 1CE24552
	s_add_u32 m0, 0x700, s49                                   // 000000003820: 807C31FF 00000700
	buffer_load_dword v36, s[8:11], 0 offen lds                // 000000003828: E0511000 80020024
	v_mfma_f32_16x16x16_bf16 v[56:59], a[84:85], a[36:37], v[56:59]// 000000003830: D3E10038 1CE24954
	s_add_u32 s31, 0x100, s33                                  // 000000003838: 801F21FF 00000100
	s_cmp_lt_u32 s31, s34                                      // 000000003840: BF0A221F
	s_cselect_b32 s45, s45, 0                                  // 000000003844: 852D802D
	v_mfma_f32_16x16x16_bf16 v[56:59], a[86:87], a[38:39], v[56:59]// 000000003848: D3E10038 1CE24D56
	s_add_u32 s8, s45, s8                                      // 000000003850: 8008082D
	s_addc_u32 s9, 0, s9                                       // 000000003854: 82090980
	s_addk_i32 s33, 0x40                                       // 000000003858: B7210040
	s_cmp_lt_i32 s33, s34                                      // 00000000385C: BF042221
	s_cbranch_scc0 label_0A18                                  // 000000003860: BF84067F
	s_waitcnt vmcnt(18) lgkmcnt(0)                             // 000000003864: BF8C4072
	s_barrier                                                  // 000000003868: BF8A0000
	v_mfma_f32_16x16x16_bf16 v[40:43], a[88:89], a[40:41], v[40:43]// 00000000386C: D3E10028 1CA25158
	s_add_u32 m0, 0, s47                                       // 000000003874: 807C2F80
	buffer_load_dword v18, s[4:7], 0 offen lds                 // 000000003878: E0511000 80010012
	v_mfma_f32_16x16x16_bf16 v[40:43], a[90:91], a[42:43], v[40:43]// 000000003880: D3E10028 1CA2555A
	s_add_u32 m0, 0x100, s47                                   // 000000003888: 807C2FFF 00000100
	buffer_load_dword v19, s[4:7], 0 offen lds                 // 000000003890: E0511000 80010013
	ds_read_b128 a[0:3], v28 offset:20736                      // 000000003898: DBFE5100 0000001C
	ds_read_b128 a[4:7], v28 offset:20800                      // 0000000038A0: DBFE5140 0400001C
	v_mfma_f32_16x16x16_bf16 v[40:43], a[92:93], a[44:45], v[40:43]// 0000000038A8: D3E10028 1CA2595C
	s_add_u32 m0, 0x200, s47                                   // 0000000038B0: 807C2FFF 00000200
	buffer_load_dword v20, s[4:7], 0 offen lds                 // 0000000038B8: E0511000 80010014
	v_mfma_f32_16x16x16_bf16 v[40:43], a[94:95], a[46:47], v[40:43]// 0000000038C0: D3E10028 1CA25D5E
	s_add_u32 m0, 0x300, s47                                   // 0000000038C8: 807C2FFF 00000300
	buffer_load_dword v21, s[4:7], 0 offen lds                 // 0000000038D0: E0511000 80010015
	ds_read_b128 a[8:11], v28 offset:21248                     // 0000000038D8: DBFE5300 0800001C
	ds_read_b128 a[12:15], v28 offset:21312                    // 0000000038E0: DBFE5340 0C00001C
	v_mfma_f32_16x16x16_bf16 v[44:47], a[88:89], a[48:49], v[44:47]// 0000000038E8: D3E1002C 1CB26158
	s_add_u32 m0, 0x400, s47                                   // 0000000038F0: 807C2FFF 00000400
	buffer_load_dword v22, s[4:7], 0 offen lds                 // 0000000038F8: E0511000 80010016
	v_mfma_f32_16x16x16_bf16 v[44:47], a[90:91], a[50:51], v[44:47]// 000000003900: D3E1002C 1CB2655A
	s_add_u32 m0, 0x500, s47                                   // 000000003908: 807C2FFF 00000500
	buffer_load_dword v23, s[4:7], 0 offen lds                 // 000000003910: E0511000 80010017
	ds_read_b128 a[16:19], v28 offset:21760                    // 000000003918: DBFE5500 1000001C
	ds_read_b128 a[20:23], v28 offset:21824                    // 000000003920: DBFE5540 1400001C
	v_mfma_f32_16x16x16_bf16 v[44:47], a[92:93], a[52:53], v[44:47]// 000000003928: D3E1002C 1CB2695C
	s_add_u32 m0, 0x600, s47                                   // 000000003930: 807C2FFF 00000600
	buffer_load_dword v24, s[4:7], 0 offen lds                 // 000000003938: E0511000 80010018
	v_mfma_f32_16x16x16_bf16 v[44:47], a[94:95], a[54:55], v[44:47]// 000000003940: D3E1002C 1CB26D5E
	s_add_u32 m0, 0x700, s47                                   // 000000003948: 807C2FFF 00000700
	buffer_load_dword v25, s[4:7], 0 offen lds                 // 000000003950: E0511000 80010019
	ds_read_b128 a[24:27], v28 offset:22272                    // 000000003958: DBFE5700 1800001C
	ds_read_b128 a[28:31], v28 offset:22336                    // 000000003960: DBFE5740 1C00001C
	v_mfma_f32_16x16x16_bf16 v[48:51], a[88:89], a[56:57], v[48:51]// 000000003968: D3E10030 1CC27158
	s_add_u32 m0, 0x800, s47                                   // 000000003970: 807C2FFF 00000800
	buffer_load_dword v26, s[4:7], 0 offen lds                 // 000000003978: E0511000 8001001A
	v_mfma_f32_16x16x16_bf16 v[48:51], a[90:91], a[58:59], v[48:51]// 000000003980: D3E10030 1CC2755A
	s_add_u32 m0, 0x900, s47                                   // 000000003988: 807C2FFF 00000900
	buffer_load_dword v27, s[4:7], 0 offen lds                 // 000000003990: E0511000 8001001B
	ds_read_b128 a[32:35], v28 offset:22784                    // 000000003998: DBFE5900 2000001C
	ds_read_b128 a[36:39], v28 offset:22848                    // 0000000039A0: DBFE5940 2400001C
	v_mfma_f32_16x16x16_bf16 v[48:51], a[92:93], a[60:61], v[48:51]// 0000000039A8: D3E10030 1CC2795C
	s_add_u32 s31, 0x100, s33                                  // 0000000039B0: 801F21FF 00000100
	s_cmp_lt_u32 s31, s34                                      // 0000000039B8: BF0A221F
	s_cselect_b32 s44, s44, 0                                  // 0000000039BC: 852C802C
	s_add_u32 m0, 0, s50                                       // 0000000039C0: 807C3280
	buffer_load_dword v29, s[8:11], 0 offen lds                // 0000000039C4: E0511000 8002001D
	v_mfma_f32_16x16x16_bf16 v[48:51], a[94:95], a[62:63], v[48:51]// 0000000039CC: D3E10030 1CC27D5E
	s_add_u32 m0, 0x100, s50                                   // 0000000039D4: 807C32FF 00000100
	buffer_load_dword v30, s[8:11], 0 offen lds                // 0000000039DC: E0511000 8002001E
	s_add_u32 s4, s44, s4                                      // 0000000039E4: 8004042C
	s_addc_u32 s5, 0, s5                                       // 0000000039E8: 82050580
	ds_read_b128 a[80:83], v37 offset:47744                    // 0000000039EC: DBFEBA80 50000025
	ds_read_b128 a[84:87], v37 offset:47808                    // 0000000039F4: DBFEBAC0 54000025
	v_mfma_f32_16x16x16_bf16 v[52:55], a[88:89], a[64:65], v[52:55]// 0000000039FC: D3E10034 1CD28158
	s_add_u32 m0, 0x200, s50                                   // 000000003A04: 807C32FF 00000200
	buffer_load_dword v31, s[8:11], 0 offen lds                // 000000003A0C: E0511000 8002001F
	v_mfma_f32_16x16x16_bf16 v[52:55], a[90:91], a[66:67], v[52:55]// 000000003A14: D3E10034 1CD2855A
	s_add_u32 m0, 0x300, s50                                   // 000000003A1C: 807C32FF 00000300
	buffer_load_dword v32, s[8:11], 0 offen lds                // 000000003A24: E0511000 80020020
	v_mfma_f32_16x16x16_bf16 v[52:55], a[92:93], a[68:69], v[52:55]// 000000003A2C: D3E10034 1CD2895C
	s_add_u32 m0, 0x400, s50                                   // 000000003A34: 807C32FF 00000400
	buffer_load_dword v33, s[8:11], 0 offen lds                // 000000003A3C: E0511000 80020021
	v_mfma_f32_16x16x16_bf16 v[52:55], a[94:95], a[70:71], v[52:55]// 000000003A44: D3E10034 1CD28D5E
	s_add_u32 m0, 0x500, s50                                   // 000000003A4C: 807C32FF 00000500
	buffer_load_dword v34, s[8:11], 0 offen lds                // 000000003A54: E0511000 80020022
	v_mfma_f32_16x16x16_bf16 v[56:59], a[88:89], a[72:73], v[56:59]// 000000003A5C: D3E10038 1CE29158
	s_add_u32 m0, 0x600, s50                                   // 000000003A64: 807C32FF 00000600
	buffer_load_dword v35, s[8:11], 0 offen lds                // 000000003A6C: E0511000 80020023
	v_mfma_f32_16x16x16_bf16 v[56:59], a[90:91], a[74:75], v[56:59]// 000000003A74: D3E10038 1CE2955A
	s_add_u32 m0, 0x700, s50                                   // 000000003A7C: 807C32FF 00000700
	buffer_load_dword v36, s[8:11], 0 offen lds                // 000000003A84: E0511000 80020024
	v_mfma_f32_16x16x16_bf16 v[56:59], a[92:93], a[76:77], v[56:59]// 000000003A8C: D3E10038 1CE2995C
	s_add_u32 s31, 0x100, s33                                  // 000000003A94: 801F21FF 00000100
	s_cmp_lt_u32 s31, s34                                      // 000000003A9C: BF0A221F
	s_cselect_b32 s45, s45, 0                                  // 000000003AA0: 852D802D
	v_mfma_f32_16x16x16_bf16 v[56:59], a[94:95], a[78:79], v[56:59]// 000000003AA4: D3E10038 1CE29D5E
	s_add_u32 s8, s45, s8                                      // 000000003AAC: 8008082D
	s_addc_u32 s9, 0, s9                                       // 000000003AB0: 82090980
	s_addk_i32 s33, 0x40                                       // 000000003AB4: B7210040
	s_cmp_lt_i32 s33, s34                                      // 000000003AB8: BF042221
	s_cbranch_scc0 label_0A18                                  // 000000003ABC: BF8405E8
	s_waitcnt vmcnt(18) lgkmcnt(0)                             // 000000003AC0: BF8C4072
	s_barrier                                                  // 000000003AC4: BF8A0000
	v_mfma_f32_16x16x16_bf16 v[40:43], a[80:81], a[0:1], v[40:43]// 000000003AC8: D3E10028 1CA20150
	s_add_u32 m0, 0, s48                                       // 000000003AD0: 807C3080
	buffer_load_dword v18, s[4:7], 0 offen lds                 // 000000003AD4: E0511000 80010012
	v_mfma_f32_16x16x16_bf16 v[40:43], a[82:83], a[2:3], v[40:43]// 000000003ADC: D3E10028 1CA20552
	s_add_u32 m0, 0x100, s48                                   // 000000003AE4: 807C30FF 00000100
	buffer_load_dword v19, s[4:7], 0 offen lds                 // 000000003AEC: E0511000 80010013
	ds_read_b128 a[40:43], v28                                 // 000000003AF4: DBFE0000 2800001C
	ds_read_b128 a[44:47], v28 offset:64                       // 000000003AFC: DBFE0040 2C00001C
	v_mfma_f32_16x16x16_bf16 v[40:43], a[84:85], a[4:5], v[40:43]// 000000003B04: D3E10028 1CA20954
	s_add_u32 m0, 0x200, s48                                   // 000000003B0C: 807C30FF 00000200
	buffer_load_dword v20, s[4:7], 0 offen lds                 // 000000003B14: E0511000 80010014
	v_mfma_f32_16x16x16_bf16 v[40:43], a[86:87], a[6:7], v[40:43]// 000000003B1C: D3E10028 1CA20D56
	s_add_u32 m0, 0x300, s48                                   // 000000003B24: 807C30FF 00000300
	buffer_load_dword v21, s[4:7], 0 offen lds                 // 000000003B2C: E0511000 80010015
	ds_read_b128 a[48:51], v28 offset:512                      // 000000003B34: DBFE0200 3000001C
	ds_read_b128 a[52:55], v28 offset:576                      // 000000003B3C: DBFE0240 3400001C
	v_mfma_f32_16x16x16_bf16 v[44:47], a[80:81], a[8:9], v[44:47]// 000000003B44: D3E1002C 1CB21150
	s_add_u32 m0, 0x400, s48                                   // 000000003B4C: 807C30FF 00000400
	buffer_load_dword v22, s[4:7], 0 offen lds                 // 000000003B54: E0511000 80010016
	v_mfma_f32_16x16x16_bf16 v[44:47], a[82:83], a[10:11], v[44:47]// 000000003B5C: D3E1002C 1CB21552
	s_add_u32 m0, 0x500, s48                                   // 000000003B64: 807C30FF 00000500
	buffer_load_dword v23, s[4:7], 0 offen lds                 // 000000003B6C: E0511000 80010017
	ds_read_b128 a[56:59], v28 offset:1024                     // 000000003B74: DBFE0400 3800001C
	ds_read_b128 a[60:63], v28 offset:1088                     // 000000003B7C: DBFE0440 3C00001C
	v_mfma_f32_16x16x16_bf16 v[44:47], a[84:85], a[12:13], v[44:47]// 000000003B84: D3E1002C 1CB21954
	s_add_u32 m0, 0x600, s48                                   // 000000003B8C: 807C30FF 00000600
	buffer_load_dword v24, s[4:7], 0 offen lds                 // 000000003B94: E0511000 80010018
	v_mfma_f32_16x16x16_bf16 v[44:47], a[86:87], a[14:15], v[44:47]// 000000003B9C: D3E1002C 1CB21D56
	s_add_u32 m0, 0x700, s48                                   // 000000003BA4: 807C30FF 00000700
	buffer_load_dword v25, s[4:7], 0 offen lds                 // 000000003BAC: E0511000 80010019
	ds_read_b128 a[64:67], v28 offset:1536                     // 000000003BB4: DBFE0600 4000001C
	ds_read_b128 a[68:71], v28 offset:1600                     // 000000003BBC: DBFE0640 4400001C
	v_mfma_f32_16x16x16_bf16 v[48:51], a[80:81], a[16:17], v[48:51]// 000000003BC4: D3E10030 1CC22150
	s_add_u32 m0, 0x800, s48                                   // 000000003BCC: 807C30FF 00000800
	buffer_load_dword v26, s[4:7], 0 offen lds                 // 000000003BD4: E0511000 8001001A
	v_mfma_f32_16x16x16_bf16 v[48:51], a[82:83], a[18:19], v[48:51]// 000000003BDC: D3E10030 1CC22552
	s_add_u32 m0, 0x900, s48                                   // 000000003BE4: 807C30FF 00000900
	buffer_load_dword v27, s[4:7], 0 offen lds                 // 000000003BEC: E0511000 8001001B
	ds_read_b128 a[72:75], v28 offset:2048                     // 000000003BF4: DBFE0800 4800001C
	ds_read_b128 a[76:79], v28 offset:2112                     // 000000003BFC: DBFE0840 4C00001C
	v_mfma_f32_16x16x16_bf16 v[48:51], a[84:85], a[20:21], v[48:51]// 000000003C04: D3E10030 1CC22954
	s_add_u32 s31, 0x100, s33                                  // 000000003C0C: 801F21FF 00000100
	s_cmp_lt_u32 s31, s34                                      // 000000003C14: BF0A221F
	s_cselect_b32 s44, s44, 0                                  // 000000003C18: 852C802C
	s_add_u32 m0, 0, s51                                       // 000000003C1C: 807C3380
	buffer_load_dword v29, s[8:11], 0 offen lds                // 000000003C20: E0511000 8002001D
	v_mfma_f32_16x16x16_bf16 v[48:51], a[86:87], a[22:23], v[48:51]// 000000003C28: D3E10030 1CC22D56
	s_add_u32 m0, 0x100, s51                                   // 000000003C30: 807C33FF 00000100
	buffer_load_dword v30, s[8:11], 0 offen lds                // 000000003C38: E0511000 8002001E
	s_add_u32 s4, s44, s4                                      // 000000003C40: 8004042C
	s_addc_u32 s5, 0, s5                                       // 000000003C44: 82050580
	ds_read_b128 a[88:91], v37 offset:31104                    // 000000003C48: DBFE7980 58000025
	ds_read_b128 a[92:95], v37 offset:31168                    // 000000003C50: DBFE79C0 5C000025
	v_mfma_f32_16x16x16_bf16 v[52:55], a[80:81], a[24:25], v[52:55]// 000000003C58: D3E10034 1CD23150
	s_add_u32 m0, 0x200, s51                                   // 000000003C60: 807C33FF 00000200
	buffer_load_dword v31, s[8:11], 0 offen lds                // 000000003C68: E0511000 8002001F
	v_mfma_f32_16x16x16_bf16 v[52:55], a[82:83], a[26:27], v[52:55]// 000000003C70: D3E10034 1CD23552
	s_add_u32 m0, 0x300, s51                                   // 000000003C78: 807C33FF 00000300
	buffer_load_dword v32, s[8:11], 0 offen lds                // 000000003C80: E0511000 80020020
	v_mfma_f32_16x16x16_bf16 v[52:55], a[84:85], a[28:29], v[52:55]// 000000003C88: D3E10034 1CD23954
	s_add_u32 m0, 0x400, s51                                   // 000000003C90: 807C33FF 00000400
	buffer_load_dword v33, s[8:11], 0 offen lds                // 000000003C98: E0511000 80020021
	v_mfma_f32_16x16x16_bf16 v[52:55], a[86:87], a[30:31], v[52:55]// 000000003CA0: D3E10034 1CD23D56
	s_add_u32 m0, 0x500, s51                                   // 000000003CA8: 807C33FF 00000500
	buffer_load_dword v34, s[8:11], 0 offen lds                // 000000003CB0: E0511000 80020022
	v_mfma_f32_16x16x16_bf16 v[56:59], a[80:81], a[32:33], v[56:59]// 000000003CB8: D3E10038 1CE24150
	s_add_u32 m0, 0x600, s51                                   // 000000003CC0: 807C33FF 00000600
	buffer_load_dword v35, s[8:11], 0 offen lds                // 000000003CC8: E0511000 80020023
	v_mfma_f32_16x16x16_bf16 v[56:59], a[82:83], a[34:35], v[56:59]// 000000003CD0: D3E10038 1CE24552
	s_add_u32 m0, 0x700, s51                                   // 000000003CD8: 807C33FF 00000700
	buffer_load_dword v36, s[8:11], 0 offen lds                // 000000003CE0: E0511000 80020024
	v_mfma_f32_16x16x16_bf16 v[56:59], a[84:85], a[36:37], v[56:59]// 000000003CE8: D3E10038 1CE24954
	s_add_u32 s31, 0x100, s33                                  // 000000003CF0: 801F21FF 00000100
	s_cmp_lt_u32 s31, s34                                      // 000000003CF8: BF0A221F
	s_cselect_b32 s45, s45, 0                                  // 000000003CFC: 852D802D
	v_mfma_f32_16x16x16_bf16 v[56:59], a[86:87], a[38:39], v[56:59]// 000000003D00: D3E10038 1CE24D56
	s_add_u32 s8, s45, s8                                      // 000000003D08: 8008082D
	s_addc_u32 s9, 0, s9                                       // 000000003D0C: 82090980
	s_addk_i32 s33, 0x40                                       // 000000003D10: B7210040
	s_cmp_lt_i32 s33, s34                                      // 000000003D14: BF042221
	s_cbranch_scc0 label_0A18                                  // 000000003D18: BF840551
	s_waitcnt vmcnt(18) lgkmcnt(0)                             // 000000003D1C: BF8C4072
	s_barrier                                                  // 000000003D20: BF8A0000
	v_mfma_f32_16x16x16_bf16 v[40:43], a[88:89], a[40:41], v[40:43]// 000000003D24: D3E10028 1CA25158
	s_add_u32 m0, 0, s46                                       // 000000003D2C: 807C2E80
	buffer_load_dword v18, s[4:7], 0 offen lds                 // 000000003D30: E0511000 80010012
	v_mfma_f32_16x16x16_bf16 v[40:43], a[90:91], a[42:43], v[40:43]// 000000003D38: D3E10028 1CA2555A
	s_add_u32 m0, 0x100, s46                                   // 000000003D40: 807C2EFF 00000100
	buffer_load_dword v19, s[4:7], 0 offen lds                 // 000000003D48: E0511000 80010013
	ds_read_b128 a[0:3], v28 offset:10368                      // 000000003D50: DBFE2880 0000001C
	ds_read_b128 a[4:7], v28 offset:10432                      // 000000003D58: DBFE28C0 0400001C
	v_mfma_f32_16x16x16_bf16 v[40:43], a[92:93], a[44:45], v[40:43]// 000000003D60: D3E10028 1CA2595C
	s_add_u32 m0, 0x200, s46                                   // 000000003D68: 807C2EFF 00000200
	buffer_load_dword v20, s[4:7], 0 offen lds                 // 000000003D70: E0511000 80010014
	v_mfma_f32_16x16x16_bf16 v[40:43], a[94:95], a[46:47], v[40:43]// 000000003D78: D3E10028 1CA25D5E
	s_add_u32 m0, 0x300, s46                                   // 000000003D80: 807C2EFF 00000300
	buffer_load_dword v21, s[4:7], 0 offen lds                 // 000000003D88: E0511000 80010015
	ds_read_b128 a[8:11], v28 offset:10880                     // 000000003D90: DBFE2A80 0800001C
	ds_read_b128 a[12:15], v28 offset:10944                    // 000000003D98: DBFE2AC0 0C00001C
	v_mfma_f32_16x16x16_bf16 v[44:47], a[88:89], a[48:49], v[44:47]// 000000003DA0: D3E1002C 1CB26158
	s_add_u32 m0, 0x400, s46                                   // 000000003DA8: 807C2EFF 00000400
	buffer_load_dword v22, s[4:7], 0 offen lds                 // 000000003DB0: E0511000 80010016
	v_mfma_f32_16x16x16_bf16 v[44:47], a[90:91], a[50:51], v[44:47]// 000000003DB8: D3E1002C 1CB2655A
	s_add_u32 m0, 0x500, s46                                   // 000000003DC0: 807C2EFF 00000500
	buffer_load_dword v23, s[4:7], 0 offen lds                 // 000000003DC8: E0511000 80010017
	ds_read_b128 a[16:19], v28 offset:11392                    // 000000003DD0: DBFE2C80 1000001C
	ds_read_b128 a[20:23], v28 offset:11456                    // 000000003DD8: DBFE2CC0 1400001C
	v_mfma_f32_16x16x16_bf16 v[44:47], a[92:93], a[52:53], v[44:47]// 000000003DE0: D3E1002C 1CB2695C
	s_add_u32 m0, 0x600, s46                                   // 000000003DE8: 807C2EFF 00000600
	buffer_load_dword v24, s[4:7], 0 offen lds                 // 000000003DF0: E0511000 80010018
	v_mfma_f32_16x16x16_bf16 v[44:47], a[94:95], a[54:55], v[44:47]// 000000003DF8: D3E1002C 1CB26D5E
	s_add_u32 m0, 0x700, s46                                   // 000000003E00: 807C2EFF 00000700
	buffer_load_dword v25, s[4:7], 0 offen lds                 // 000000003E08: E0511000 80010019
	ds_read_b128 a[24:27], v28 offset:11904                    // 000000003E10: DBFE2E80 1800001C
	ds_read_b128 a[28:31], v28 offset:11968                    // 000000003E18: DBFE2EC0 1C00001C
	v_mfma_f32_16x16x16_bf16 v[48:51], a[88:89], a[56:57], v[48:51]// 000000003E20: D3E10030 1CC27158
	s_add_u32 m0, 0x800, s46                                   // 000000003E28: 807C2EFF 00000800
	buffer_load_dword v26, s[4:7], 0 offen lds                 // 000000003E30: E0511000 8001001A
	v_mfma_f32_16x16x16_bf16 v[48:51], a[90:91], a[58:59], v[48:51]// 000000003E38: D3E10030 1CC2755A
	s_add_u32 m0, 0x900, s46                                   // 000000003E40: 807C2EFF 00000900
	buffer_load_dword v27, s[4:7], 0 offen lds                 // 000000003E48: E0511000 8001001B
	ds_read_b128 a[32:35], v28 offset:12416                    // 000000003E50: DBFE3080 2000001C
	ds_read_b128 a[36:39], v28 offset:12480                    // 000000003E58: DBFE30C0 2400001C
	v_mfma_f32_16x16x16_bf16 v[48:51], a[92:93], a[60:61], v[48:51]// 000000003E60: D3E10030 1CC2795C
	s_add_u32 s31, 0x100, s33                                  // 000000003E68: 801F21FF 00000100
	s_cmp_lt_u32 s31, s34                                      // 000000003E70: BF0A221F
	s_cselect_b32 s44, s44, 0                                  // 000000003E74: 852C802C
	s_add_u32 m0, 0, s49                                       // 000000003E78: 807C3180
	buffer_load_dword v29, s[8:11], 0 offen lds                // 000000003E7C: E0511000 8002001D
	v_mfma_f32_16x16x16_bf16 v[48:51], a[94:95], a[62:63], v[48:51]// 000000003E84: D3E10030 1CC27D5E
	s_add_u32 m0, 0x100, s49                                   // 000000003E8C: 807C31FF 00000100
	buffer_load_dword v30, s[8:11], 0 offen lds                // 000000003E94: E0511000 8002001E
	s_add_u32 s4, s44, s4                                      // 000000003E9C: 8004042C
	s_addc_u32 s5, 0, s5                                       // 000000003EA0: 82050580
	ds_read_b128 a[80:83], v37 offset:39424                    // 000000003EA4: DBFE9A00 50000025
	ds_read_b128 a[84:87], v37 offset:39488                    // 000000003EAC: DBFE9A40 54000025
	v_mfma_f32_16x16x16_bf16 v[52:55], a[88:89], a[64:65], v[52:55]// 000000003EB4: D3E10034 1CD28158
	s_add_u32 m0, 0x200, s49                                   // 000000003EBC: 807C31FF 00000200
	buffer_load_dword v31, s[8:11], 0 offen lds                // 000000003EC4: E0511000 8002001F
	v_mfma_f32_16x16x16_bf16 v[52:55], a[90:91], a[66:67], v[52:55]// 000000003ECC: D3E10034 1CD2855A
	s_add_u32 m0, 0x300, s49                                   // 000000003ED4: 807C31FF 00000300
	buffer_load_dword v32, s[8:11], 0 offen lds                // 000000003EDC: E0511000 80020020
	v_mfma_f32_16x16x16_bf16 v[52:55], a[92:93], a[68:69], v[52:55]// 000000003EE4: D3E10034 1CD2895C
	s_add_u32 m0, 0x400, s49                                   // 000000003EEC: 807C31FF 00000400
	buffer_load_dword v33, s[8:11], 0 offen lds                // 000000003EF4: E0511000 80020021
	v_mfma_f32_16x16x16_bf16 v[52:55], a[94:95], a[70:71], v[52:55]// 000000003EFC: D3E10034 1CD28D5E
	s_add_u32 m0, 0x500, s49                                   // 000000003F04: 807C31FF 00000500
	buffer_load_dword v34, s[8:11], 0 offen lds                // 000000003F0C: E0511000 80020022
	v_mfma_f32_16x16x16_bf16 v[56:59], a[88:89], a[72:73], v[56:59]// 000000003F14: D3E10038 1CE29158
	s_add_u32 m0, 0x600, s49                                   // 000000003F1C: 807C31FF 00000600
	buffer_load_dword v35, s[8:11], 0 offen lds                // 000000003F24: E0511000 80020023
	v_mfma_f32_16x16x16_bf16 v[56:59], a[90:91], a[74:75], v[56:59]// 000000003F2C: D3E10038 1CE2955A
	s_add_u32 m0, 0x700, s49                                   // 000000003F34: 807C31FF 00000700
	buffer_load_dword v36, s[8:11], 0 offen lds                // 000000003F3C: E0511000 80020024
	v_mfma_f32_16x16x16_bf16 v[56:59], a[92:93], a[76:77], v[56:59]// 000000003F44: D3E10038 1CE2995C
	s_add_u32 s31, 0x100, s33                                  // 000000003F4C: 801F21FF 00000100
	s_cmp_lt_u32 s31, s34                                      // 000000003F54: BF0A221F
	s_cselect_b32 s45, s45, 0                                  // 000000003F58: 852D802D
	v_mfma_f32_16x16x16_bf16 v[56:59], a[94:95], a[78:79], v[56:59]// 000000003F5C: D3E10038 1CE29D5E
	s_add_u32 s8, s45, s8                                      // 000000003F64: 8008082D
	s_addc_u32 s9, 0, s9                                       // 000000003F68: 82090980
	s_addk_i32 s33, 0x40                                       // 000000003F6C: B7210040
	s_cmp_lt_i32 s33, s34                                      // 000000003F70: BF042221
	s_cbranch_scc0 label_0A18                                  // 000000003F74: BF8404BA
	s_waitcnt vmcnt(18) lgkmcnt(0)                             // 000000003F78: BF8C4072
	s_barrier                                                  // 000000003F7C: BF8A0000
	v_mfma_f32_16x16x16_bf16 v[40:43], a[80:81], a[0:1], v[40:43]// 000000003F80: D3E10028 1CA20150
	s_add_u32 m0, 0, s47                                       // 000000003F88: 807C2F80
	buffer_load_dword v18, s[4:7], 0 offen lds                 // 000000003F8C: E0511000 80010012
	v_mfma_f32_16x16x16_bf16 v[40:43], a[82:83], a[2:3], v[40:43]// 000000003F94: D3E10028 1CA20552
	s_add_u32 m0, 0x100, s47                                   // 000000003F9C: 807C2FFF 00000100
	buffer_load_dword v19, s[4:7], 0 offen lds                 // 000000003FA4: E0511000 80010013
	ds_read_b128 a[40:43], v28 offset:20736                    // 000000003FAC: DBFE5100 2800001C
	ds_read_b128 a[44:47], v28 offset:20800                    // 000000003FB4: DBFE5140 2C00001C
	v_mfma_f32_16x16x16_bf16 v[40:43], a[84:85], a[4:5], v[40:43]// 000000003FBC: D3E10028 1CA20954
	s_add_u32 m0, 0x200, s47                                   // 000000003FC4: 807C2FFF 00000200
	buffer_load_dword v20, s[4:7], 0 offen lds                 // 000000003FCC: E0511000 80010014
	v_mfma_f32_16x16x16_bf16 v[40:43], a[86:87], a[6:7], v[40:43]// 000000003FD4: D3E10028 1CA20D56
	s_add_u32 m0, 0x300, s47                                   // 000000003FDC: 807C2FFF 00000300
	buffer_load_dword v21, s[4:7], 0 offen lds                 // 000000003FE4: E0511000 80010015
	ds_read_b128 a[48:51], v28 offset:21248                    // 000000003FEC: DBFE5300 3000001C
	ds_read_b128 a[52:55], v28 offset:21312                    // 000000003FF4: DBFE5340 3400001C
	v_mfma_f32_16x16x16_bf16 v[44:47], a[80:81], a[8:9], v[44:47]// 000000003FFC: D3E1002C 1CB21150
	s_add_u32 m0, 0x400, s47                                   // 000000004004: 807C2FFF 00000400
	buffer_load_dword v22, s[4:7], 0 offen lds                 // 00000000400C: E0511000 80010016
	v_mfma_f32_16x16x16_bf16 v[44:47], a[82:83], a[10:11], v[44:47]// 000000004014: D3E1002C 1CB21552
	s_add_u32 m0, 0x500, s47                                   // 00000000401C: 807C2FFF 00000500
	buffer_load_dword v23, s[4:7], 0 offen lds                 // 000000004024: E0511000 80010017
	ds_read_b128 a[56:59], v28 offset:21760                    // 00000000402C: DBFE5500 3800001C
	ds_read_b128 a[60:63], v28 offset:21824                    // 000000004034: DBFE5540 3C00001C
	v_mfma_f32_16x16x16_bf16 v[44:47], a[84:85], a[12:13], v[44:47]// 00000000403C: D3E1002C 1CB21954
	s_add_u32 m0, 0x600, s47                                   // 000000004044: 807C2FFF 00000600
	buffer_load_dword v24, s[4:7], 0 offen lds                 // 00000000404C: E0511000 80010018
	v_mfma_f32_16x16x16_bf16 v[44:47], a[86:87], a[14:15], v[44:47]// 000000004054: D3E1002C 1CB21D56
	s_add_u32 m0, 0x700, s47                                   // 00000000405C: 807C2FFF 00000700
	buffer_load_dword v25, s[4:7], 0 offen lds                 // 000000004064: E0511000 80010019
	ds_read_b128 a[64:67], v28 offset:22272                    // 00000000406C: DBFE5700 4000001C
	ds_read_b128 a[68:71], v28 offset:22336                    // 000000004074: DBFE5740 4400001C
	v_mfma_f32_16x16x16_bf16 v[48:51], a[80:81], a[16:17], v[48:51]// 00000000407C: D3E10030 1CC22150
	s_add_u32 m0, 0x800, s47                                   // 000000004084: 807C2FFF 00000800
	buffer_load_dword v26, s[4:7], 0 offen lds                 // 00000000408C: E0511000 8001001A
	v_mfma_f32_16x16x16_bf16 v[48:51], a[82:83], a[18:19], v[48:51]// 000000004094: D3E10030 1CC22552
	s_add_u32 m0, 0x900, s47                                   // 00000000409C: 807C2FFF 00000900
	buffer_load_dword v27, s[4:7], 0 offen lds                 // 0000000040A4: E0511000 8001001B
	ds_read_b128 a[72:75], v28 offset:22784                    // 0000000040AC: DBFE5900 4800001C
	ds_read_b128 a[76:79], v28 offset:22848                    // 0000000040B4: DBFE5940 4C00001C
	v_mfma_f32_16x16x16_bf16 v[48:51], a[84:85], a[20:21], v[48:51]// 0000000040BC: D3E10030 1CC22954
	s_add_u32 s31, 0x100, s33                                  // 0000000040C4: 801F21FF 00000100
	s_cmp_lt_u32 s31, s34                                      // 0000000040CC: BF0A221F
	s_cselect_b32 s44, s44, 0                                  // 0000000040D0: 852C802C
	s_add_u32 m0, 0, s50                                       // 0000000040D4: 807C3280
	buffer_load_dword v29, s[8:11], 0 offen lds                // 0000000040D8: E0511000 8002001D
	v_mfma_f32_16x16x16_bf16 v[48:51], a[86:87], a[22:23], v[48:51]// 0000000040E0: D3E10030 1CC22D56
	s_add_u32 m0, 0x100, s50                                   // 0000000040E8: 807C32FF 00000100
	buffer_load_dword v30, s[8:11], 0 offen lds                // 0000000040F0: E0511000 8002001E
	s_add_u32 s4, s44, s4                                      // 0000000040F8: 8004042C
	s_addc_u32 s5, 0, s5                                       // 0000000040FC: 82050580
	ds_read_b128 a[88:91], v37 offset:47744                    // 000000004100: DBFEBA80 58000025
	ds_read_b128 a[92:95], v37 offset:47808                    // 000000004108: DBFEBAC0 5C000025
	v_mfma_f32_16x16x16_bf16 v[52:55], a[80:81], a[24:25], v[52:55]// 000000004110: D3E10034 1CD23150
	s_add_u32 m0, 0x200, s50                                   // 000000004118: 807C32FF 00000200
	buffer_load_dword v31, s[8:11], 0 offen lds                // 000000004120: E0511000 8002001F
	v_mfma_f32_16x16x16_bf16 v[52:55], a[82:83], a[26:27], v[52:55]// 000000004128: D3E10034 1CD23552
	s_add_u32 m0, 0x300, s50                                   // 000000004130: 807C32FF 00000300
	buffer_load_dword v32, s[8:11], 0 offen lds                // 000000004138: E0511000 80020020
	v_mfma_f32_16x16x16_bf16 v[52:55], a[84:85], a[28:29], v[52:55]// 000000004140: D3E10034 1CD23954
	s_add_u32 m0, 0x400, s50                                   // 000000004148: 807C32FF 00000400
	buffer_load_dword v33, s[8:11], 0 offen lds                // 000000004150: E0511000 80020021
	v_mfma_f32_16x16x16_bf16 v[52:55], a[86:87], a[30:31], v[52:55]// 000000004158: D3E10034 1CD23D56
	s_add_u32 m0, 0x500, s50                                   // 000000004160: 807C32FF 00000500
	buffer_load_dword v34, s[8:11], 0 offen lds                // 000000004168: E0511000 80020022
	v_mfma_f32_16x16x16_bf16 v[56:59], a[80:81], a[32:33], v[56:59]// 000000004170: D3E10038 1CE24150
	s_add_u32 m0, 0x600, s50                                   // 000000004178: 807C32FF 00000600
	buffer_load_dword v35, s[8:11], 0 offen lds                // 000000004180: E0511000 80020023
	v_mfma_f32_16x16x16_bf16 v[56:59], a[82:83], a[34:35], v[56:59]// 000000004188: D3E10038 1CE24552
	s_add_u32 m0, 0x700, s50                                   // 000000004190: 807C32FF 00000700
	buffer_load_dword v36, s[8:11], 0 offen lds                // 000000004198: E0511000 80020024
	v_mfma_f32_16x16x16_bf16 v[56:59], a[84:85], a[36:37], v[56:59]// 0000000041A0: D3E10038 1CE24954
	s_add_u32 s31, 0x100, s33                                  // 0000000041A8: 801F21FF 00000100
	s_cmp_lt_u32 s31, s34                                      // 0000000041B0: BF0A221F
	s_cselect_b32 s45, s45, 0                                  // 0000000041B4: 852D802D
	v_mfma_f32_16x16x16_bf16 v[56:59], a[86:87], a[38:39], v[56:59]// 0000000041B8: D3E10038 1CE24D56
	s_add_u32 s8, s45, s8                                      // 0000000041C0: 8008082D
	s_addc_u32 s9, 0, s9                                       // 0000000041C4: 82090980
	s_addk_i32 s33, 0x40                                       // 0000000041C8: B7210040
	s_cmp_lt_i32 s33, s34                                      // 0000000041CC: BF042221
	s_cbranch_scc0 label_0A18                                  // 0000000041D0: BF840423
	s_waitcnt vmcnt(18) lgkmcnt(0)                             // 0000000041D4: BF8C4072
	s_barrier                                                  // 0000000041D8: BF8A0000
	v_mfma_f32_16x16x16_bf16 v[40:43], a[88:89], a[40:41], v[40:43]// 0000000041DC: D3E10028 1CA25158
	s_add_u32 m0, 0, s48                                       // 0000000041E4: 807C3080
	buffer_load_dword v18, s[4:7], 0 offen lds                 // 0000000041E8: E0511000 80010012
	v_mfma_f32_16x16x16_bf16 v[40:43], a[90:91], a[42:43], v[40:43]// 0000000041F0: D3E10028 1CA2555A
	s_add_u32 m0, 0x100, s48                                   // 0000000041F8: 807C30FF 00000100
	buffer_load_dword v19, s[4:7], 0 offen lds                 // 000000004200: E0511000 80010013
	ds_read_b128 a[0:3], v28                                   // 000000004208: DBFE0000 0000001C
	ds_read_b128 a[4:7], v28 offset:64                         // 000000004210: DBFE0040 0400001C
	v_mfma_f32_16x16x16_bf16 v[40:43], a[92:93], a[44:45], v[40:43]// 000000004218: D3E10028 1CA2595C
	s_add_u32 m0, 0x200, s48                                   // 000000004220: 807C30FF 00000200
	buffer_load_dword v20, s[4:7], 0 offen lds                 // 000000004228: E0511000 80010014
	v_mfma_f32_16x16x16_bf16 v[40:43], a[94:95], a[46:47], v[40:43]// 000000004230: D3E10028 1CA25D5E
	s_add_u32 m0, 0x300, s48                                   // 000000004238: 807C30FF 00000300
	buffer_load_dword v21, s[4:7], 0 offen lds                 // 000000004240: E0511000 80010015
	ds_read_b128 a[8:11], v28 offset:512                       // 000000004248: DBFE0200 0800001C
	ds_read_b128 a[12:15], v28 offset:576                      // 000000004250: DBFE0240 0C00001C
	v_mfma_f32_16x16x16_bf16 v[44:47], a[88:89], a[48:49], v[44:47]// 000000004258: D3E1002C 1CB26158
	s_add_u32 m0, 0x400, s48                                   // 000000004260: 807C30FF 00000400
	buffer_load_dword v22, s[4:7], 0 offen lds                 // 000000004268: E0511000 80010016
	v_mfma_f32_16x16x16_bf16 v[44:47], a[90:91], a[50:51], v[44:47]// 000000004270: D3E1002C 1CB2655A
	s_add_u32 m0, 0x500, s48                                   // 000000004278: 807C30FF 00000500
	buffer_load_dword v23, s[4:7], 0 offen lds                 // 000000004280: E0511000 80010017
	ds_read_b128 a[16:19], v28 offset:1024                     // 000000004288: DBFE0400 1000001C
	ds_read_b128 a[20:23], v28 offset:1088                     // 000000004290: DBFE0440 1400001C
	v_mfma_f32_16x16x16_bf16 v[44:47], a[92:93], a[52:53], v[44:47]// 000000004298: D3E1002C 1CB2695C
	s_add_u32 m0, 0x600, s48                                   // 0000000042A0: 807C30FF 00000600
	buffer_load_dword v24, s[4:7], 0 offen lds                 // 0000000042A8: E0511000 80010018
	v_mfma_f32_16x16x16_bf16 v[44:47], a[94:95], a[54:55], v[44:47]// 0000000042B0: D3E1002C 1CB26D5E
	s_add_u32 m0, 0x700, s48                                   // 0000000042B8: 807C30FF 00000700
	buffer_load_dword v25, s[4:7], 0 offen lds                 // 0000000042C0: E0511000 80010019
	ds_read_b128 a[24:27], v28 offset:1536                     // 0000000042C8: DBFE0600 1800001C
	ds_read_b128 a[28:31], v28 offset:1600                     // 0000000042D0: DBFE0640 1C00001C
	v_mfma_f32_16x16x16_bf16 v[48:51], a[88:89], a[56:57], v[48:51]// 0000000042D8: D3E10030 1CC27158
	s_add_u32 m0, 0x800, s48                                   // 0000000042E0: 807C30FF 00000800
	buffer_load_dword v26, s[4:7], 0 offen lds                 // 0000000042E8: E0511000 8001001A
	v_mfma_f32_16x16x16_bf16 v[48:51], a[90:91], a[58:59], v[48:51]// 0000000042F0: D3E10030 1CC2755A
	s_add_u32 m0, 0x900, s48                                   // 0000000042F8: 807C30FF 00000900
	buffer_load_dword v27, s[4:7], 0 offen lds                 // 000000004300: E0511000 8001001B
	ds_read_b128 a[32:35], v28 offset:2048                     // 000000004308: DBFE0800 2000001C
	ds_read_b128 a[36:39], v28 offset:2112                     // 000000004310: DBFE0840 2400001C
	v_mfma_f32_16x16x16_bf16 v[48:51], a[92:93], a[60:61], v[48:51]// 000000004318: D3E10030 1CC2795C
	s_add_u32 s31, 0x100, s33                                  // 000000004320: 801F21FF 00000100
	s_cmp_lt_u32 s31, s34                                      // 000000004328: BF0A221F
	s_cselect_b32 s44, s44, 0                                  // 00000000432C: 852C802C
	s_add_u32 m0, 0, s51                                       // 000000004330: 807C3380
	buffer_load_dword v29, s[8:11], 0 offen lds                // 000000004334: E0511000 8002001D
	v_mfma_f32_16x16x16_bf16 v[48:51], a[94:95], a[62:63], v[48:51]// 00000000433C: D3E10030 1CC27D5E
	s_add_u32 m0, 0x100, s51                                   // 000000004344: 807C33FF 00000100
	buffer_load_dword v30, s[8:11], 0 offen lds                // 00000000434C: E0511000 8002001E
	s_add_u32 s4, s44, s4                                      // 000000004354: 8004042C
	s_addc_u32 s5, 0, s5                                       // 000000004358: 82050580
	ds_read_b128 a[80:83], v37 offset:31104                    // 00000000435C: DBFE7980 50000025
	ds_read_b128 a[84:87], v37 offset:31168                    // 000000004364: DBFE79C0 54000025
	v_mfma_f32_16x16x16_bf16 v[52:55], a[88:89], a[64:65], v[52:55]// 00000000436C: D3E10034 1CD28158
	s_add_u32 m0, 0x200, s51                                   // 000000004374: 807C33FF 00000200
	buffer_load_dword v31, s[8:11], 0 offen lds                // 00000000437C: E0511000 8002001F
	v_mfma_f32_16x16x16_bf16 v[52:55], a[90:91], a[66:67], v[52:55]// 000000004384: D3E10034 1CD2855A
	s_add_u32 m0, 0x300, s51                                   // 00000000438C: 807C33FF 00000300
	buffer_load_dword v32, s[8:11], 0 offen lds                // 000000004394: E0511000 80020020
	v_mfma_f32_16x16x16_bf16 v[52:55], a[92:93], a[68:69], v[52:55]// 00000000439C: D3E10034 1CD2895C
	s_add_u32 m0, 0x400, s51                                   // 0000000043A4: 807C33FF 00000400
	buffer_load_dword v33, s[8:11], 0 offen lds                // 0000000043AC: E0511000 80020021
	v_mfma_f32_16x16x16_bf16 v[52:55], a[94:95], a[70:71], v[52:55]// 0000000043B4: D3E10034 1CD28D5E
	s_add_u32 m0, 0x500, s51                                   // 0000000043BC: 807C33FF 00000500
	buffer_load_dword v34, s[8:11], 0 offen lds                // 0000000043C4: E0511000 80020022
	v_mfma_f32_16x16x16_bf16 v[56:59], a[88:89], a[72:73], v[56:59]// 0000000043CC: D3E10038 1CE29158
	s_add_u32 m0, 0x600, s51                                   // 0000000043D4: 807C33FF 00000600
	buffer_load_dword v35, s[8:11], 0 offen lds                // 0000000043DC: E0511000 80020023
	v_mfma_f32_16x16x16_bf16 v[56:59], a[90:91], a[74:75], v[56:59]// 0000000043E4: D3E10038 1CE2955A
	s_add_u32 m0, 0x700, s51                                   // 0000000043EC: 807C33FF 00000700
	buffer_load_dword v36, s[8:11], 0 offen lds                // 0000000043F4: E0511000 80020024
	v_mfma_f32_16x16x16_bf16 v[56:59], a[92:93], a[76:77], v[56:59]// 0000000043FC: D3E10038 1CE2995C
	s_add_u32 s31, 0x100, s33                                  // 000000004404: 801F21FF 00000100
	s_cmp_lt_u32 s31, s34                                      // 00000000440C: BF0A221F
	s_cselect_b32 s45, s45, 0                                  // 000000004410: 852D802D
	v_mfma_f32_16x16x16_bf16 v[56:59], a[94:95], a[78:79], v[56:59]// 000000004414: D3E10038 1CE29D5E
	s_add_u32 s8, s45, s8                                      // 00000000441C: 8008082D
	s_addc_u32 s9, 0, s9                                       // 000000004420: 82090980
	s_addk_i32 s33, 0x40                                       // 000000004424: B7210040
	s_cmp_lt_i32 s33, s34                                      // 000000004428: BF042221
	s_cbranch_scc0 label_0A18                                  // 00000000442C: BF84038C
	s_branch label_0302                                        // 000000004430: BF82FC75

0000000000004434 <label_068D>:
	s_waitcnt vmcnt(18) lgkmcnt(0)                             // 000000004434: BF8C4072
	s_barrier                                                  // 000000004438: BF8A0000
	v_mfma_f32_16x16x16_bf16 v[40:43], a[80:81], a[0:1], v[40:43]// 00000000443C: D3E10028 1CA20150
	s_add_u32 m0, 0, s46                                       // 000000004444: 807C2E80
	buffer_load_dword v18, s[4:7], 0 offen lds                 // 000000004448: E0511000 80010012
	ds_read_b128 a[40:43], v28 offset:10368                    // 000000004450: DBFE2880 2800001C
	ds_read_b128 a[44:47], v28 offset:10432                    // 000000004458: DBFE28C0 2C00001C
	v_mfma_f32_16x16x16_bf16 v[40:43], a[82:83], a[2:3], v[40:43]// 000000004460: D3E10028 1CA20552
	s_add_u32 m0, 0x100, s46                                   // 000000004468: 807C2EFF 00000100
	buffer_load_dword v19, s[4:7], 0 offen lds                 // 000000004470: E0511000 80010013
	v_mfma_f32_16x16x16_bf16 v[40:43], a[84:85], a[4:5], v[40:43]// 000000004478: D3E10028 1CA20954
	s_add_u32 m0, 0x200, s46                                   // 000000004480: 807C2EFF 00000200
	buffer_load_dword v20, s[4:7], 0 offen lds                 // 000000004488: E0511000 80010014
	ds_read_b128 a[48:51], v28 offset:10880                    // 000000004490: DBFE2A80 3000001C
	ds_read_b128 a[52:55], v28 offset:10944                    // 000000004498: DBFE2AC0 3400001C
	v_mfma_f32_16x16x16_bf16 v[40:43], a[86:87], a[6:7], v[40:43]// 0000000044A0: D3E10028 1CA20D56
	s_add_u32 m0, 0x300, s46                                   // 0000000044A8: 807C2EFF 00000300
	buffer_load_dword v21, s[4:7], 0 offen lds                 // 0000000044B0: E0511000 80010015
	v_mfma_f32_16x16x16_bf16 v[44:47], a[80:81], a[8:9], v[44:47]// 0000000044B8: D3E1002C 1CB21150
	s_add_u32 m0, 0x400, s46                                   // 0000000044C0: 807C2EFF 00000400
	buffer_load_dword v22, s[4:7], 0 offen lds                 // 0000000044C8: E0511000 80010016
	ds_read_b128 a[56:59], v28 offset:11392                    // 0000000044D0: DBFE2C80 3800001C
	ds_read_b128 a[60:63], v28 offset:11456                    // 0000000044D8: DBFE2CC0 3C00001C
	v_mfma_f32_16x16x16_bf16 v[44:47], a[82:83], a[10:11], v[44:47]// 0000000044E0: D3E1002C 1CB21552
	s_add_u32 m0, 0x500, s46                                   // 0000000044E8: 807C2EFF 00000500
	buffer_load_dword v23, s[4:7], 0 offen lds                 // 0000000044F0: E0511000 80010017
	v_mfma_f32_16x16x16_bf16 v[44:47], a[84:85], a[12:13], v[44:47]// 0000000044F8: D3E1002C 1CB21954
	s_add_u32 m0, 0x600, s46                                   // 000000004500: 807C2EFF 00000600
	buffer_load_dword v24, s[4:7], 0 offen lds                 // 000000004508: E0511000 80010018
	ds_read_b128 a[64:67], v28 offset:11904                    // 000000004510: DBFE2E80 4000001C
	ds_read_b128 a[68:71], v28 offset:11968                    // 000000004518: DBFE2EC0 4400001C
	v_mfma_f32_16x16x16_bf16 v[44:47], a[86:87], a[14:15], v[44:47]// 000000004520: D3E1002C 1CB21D56
	s_add_u32 m0, 0x700, s46                                   // 000000004528: 807C2EFF 00000700
	buffer_load_dword v25, s[4:7], 0 offen lds                 // 000000004530: E0511000 80010019
	v_mfma_f32_16x16x16_bf16 v[48:51], a[80:81], a[16:17], v[48:51]// 000000004538: D3E10030 1CC22150
	s_add_u32 m0, 0x800, s46                                   // 000000004540: 807C2EFF 00000800
	buffer_load_dword v26, s[4:7], 0 offen lds                 // 000000004548: E0511000 8001001A
	ds_read_b128 a[72:75], v28 offset:12416                    // 000000004550: DBFE3080 4800001C
	ds_read_b128 a[76:79], v28 offset:12480                    // 000000004558: DBFE30C0 4C00001C
	v_mfma_f32_16x16x16_bf16 v[48:51], a[82:83], a[18:19], v[48:51]// 000000004560: D3E10030 1CC22552
	s_add_u32 m0, 0x900, s46                                   // 000000004568: 807C2EFF 00000900
	buffer_load_dword v27, s[4:7], 0 offen lds                 // 000000004570: E0511000 8001001B
	v_mfma_f32_16x16x16_bf16 v[48:51], a[84:85], a[20:21], v[48:51]// 000000004578: D3E10030 1CC22954
	s_add_u32 s31, 0x100, s33                                  // 000000004580: 801F21FF 00000100
	s_cmp_lt_u32 s31, s34                                      // 000000004588: BF0A221F
	s_cselect_b32 s44, s44, 0                                  // 00000000458C: 852C802C
	s_add_u32 m0, 0, s49                                       // 000000004590: 807C3180
	buffer_load_dword v29, s[8:11], 0 offen lds                // 000000004594: E0511000 8002001D
	s_add_u32 s4, s44, s4                                      // 00000000459C: 8004042C
	s_addc_u32 s5, 0, s5                                       // 0000000045A0: 82050580
	ds_read_b128 a[88:91], v37 offset:39424                    // 0000000045A4: DBFE9A00 58000025
	ds_read_b128 a[92:95], v37 offset:39488                    // 0000000045AC: DBFE9A40 5C000025
	v_mfma_f32_16x16x16_bf16 v[48:51], a[86:87], a[22:23], v[48:51]// 0000000045B4: D3E10030 1CC22D56
	s_add_u32 m0, 0x100, s49                                   // 0000000045BC: 807C31FF 00000100
	buffer_load_dword v30, s[8:11], 0 offen lds                // 0000000045C4: E0511000 8002001E
	v_mfma_f32_16x16x16_bf16 v[52:55], a[80:81], a[24:25], v[52:55]// 0000000045CC: D3E10034 1CD23150
	s_add_u32 m0, 0x200, s49                                   // 0000000045D4: 807C31FF 00000200
	buffer_load_dword v31, s[8:11], 0 offen lds                // 0000000045DC: E0511000 8002001F
	v_mfma_f32_16x16x16_bf16 v[52:55], a[82:83], a[26:27], v[52:55]// 0000000045E4: D3E10034 1CD23552
	s_add_u32 m0, 0x300, s49                                   // 0000000045EC: 807C31FF 00000300
	buffer_load_dword v32, s[8:11], 0 offen lds                // 0000000045F4: E0511000 80020020
	v_mfma_f32_16x16x16_bf16 v[52:55], a[84:85], a[28:29], v[52:55]// 0000000045FC: D3E10034 1CD23954
	s_add_u32 m0, 0x400, s49                                   // 000000004604: 807C31FF 00000400
	buffer_load_dword v33, s[8:11], 0 offen lds                // 00000000460C: E0511000 80020021
	v_mfma_f32_16x16x16_bf16 v[52:55], a[86:87], a[30:31], v[52:55]// 000000004614: D3E10034 1CD23D56
	s_add_u32 m0, 0x500, s49                                   // 00000000461C: 807C31FF 00000500
	buffer_load_dword v34, s[8:11], 0 offen lds                // 000000004624: E0511000 80020022
	v_mfma_f32_16x16x16_bf16 v[56:59], a[80:81], a[32:33], v[56:59]// 00000000462C: D3E10038 1CE24150
	s_add_u32 m0, 0x600, s49                                   // 000000004634: 807C31FF 00000600
	buffer_load_dword v35, s[8:11], 0 offen lds                // 00000000463C: E0511000 80020023
	v_mfma_f32_16x16x16_bf16 v[56:59], a[82:83], a[34:35], v[56:59]// 000000004644: D3E10038 1CE24552
	s_add_u32 m0, 0x700, s49                                   // 00000000464C: 807C31FF 00000700
	buffer_load_dword v36, s[8:11], 0 offen lds                // 000000004654: E0511000 80020024
	v_mfma_f32_16x16x16_bf16 v[56:59], a[84:85], a[36:37], v[56:59]// 00000000465C: D3E10038 1CE24954
	s_add_u32 s31, 0x100, s33                                  // 000000004664: 801F21FF 00000100
	s_cmp_lt_u32 s31, s34                                      // 00000000466C: BF0A221F
	s_cselect_b32 s45, s45, 0                                  // 000000004670: 852D802D
	s_add_u32 s8, s45, s8                                      // 000000004674: 8008082D
	s_addc_u32 s9, 0, s9                                       // 000000004678: 82090980
	v_mfma_f32_16x16x16_bf16 v[56:59], a[86:87], a[38:39], v[56:59]// 00000000467C: D3E10038 1CE24D56
	s_addk_i32 s33, 0x40                                       // 000000004684: B7210040
	s_cmp_lt_i32 s33, s34                                      // 000000004688: BF042221
	s_cbranch_scc0 label_0A18                                  // 00000000468C: BF8402F4
	s_waitcnt vmcnt(18) lgkmcnt(0)                             // 000000004690: BF8C4072
	s_barrier                                                  // 000000004694: BF8A0000
	v_mfma_f32_16x16x16_bf16 v[40:43], a[88:89], a[40:41], v[40:43]// 000000004698: D3E10028 1CA25158
	s_add_u32 m0, 0, s47                                       // 0000000046A0: 807C2F80
	buffer_load_dword v18, s[4:7], 0 offen lds                 // 0000000046A4: E0511000 80010012
	ds_read_b128 a[0:3], v28 offset:20736                      // 0000000046AC: DBFE5100 0000001C
	ds_read_b128 a[4:7], v28 offset:20800                      // 0000000046B4: DBFE5140 0400001C
	v_mfma_f32_16x16x16_bf16 v[40:43], a[90:91], a[42:43], v[40:43]// 0000000046BC: D3E10028 1CA2555A
	s_add_u32 m0, 0x100, s47                                   // 0000000046C4: 807C2FFF 00000100
	buffer_load_dword v19, s[4:7], 0 offen lds                 // 0000000046CC: E0511000 80010013
	v_mfma_f32_16x16x16_bf16 v[40:43], a[92:93], a[44:45], v[40:43]// 0000000046D4: D3E10028 1CA2595C
	s_add_u32 m0, 0x200, s47                                   // 0000000046DC: 807C2FFF 00000200
	buffer_load_dword v20, s[4:7], 0 offen lds                 // 0000000046E4: E0511000 80010014
	ds_read_b128 a[8:11], v28 offset:21248                     // 0000000046EC: DBFE5300 0800001C
	ds_read_b128 a[12:15], v28 offset:21312                    // 0000000046F4: DBFE5340 0C00001C
	v_mfma_f32_16x16x16_bf16 v[40:43], a[94:95], a[46:47], v[40:43]// 0000000046FC: D3E10028 1CA25D5E
	s_add_u32 m0, 0x300, s47                                   // 000000004704: 807C2FFF 00000300
	buffer_load_dword v21, s[4:7], 0 offen lds                 // 00000000470C: E0511000 80010015
	v_mfma_f32_16x16x16_bf16 v[44:47], a[88:89], a[48:49], v[44:47]// 000000004714: D3E1002C 1CB26158
	s_add_u32 m0, 0x400, s47                                   // 00000000471C: 807C2FFF 00000400
	buffer_load_dword v22, s[4:7], 0 offen lds                 // 000000004724: E0511000 80010016
	ds_read_b128 a[16:19], v28 offset:21760                    // 00000000472C: DBFE5500 1000001C
	ds_read_b128 a[20:23], v28 offset:21824                    // 000000004734: DBFE5540 1400001C
	v_mfma_f32_16x16x16_bf16 v[44:47], a[90:91], a[50:51], v[44:47]// 00000000473C: D3E1002C 1CB2655A
	s_add_u32 m0, 0x500, s47                                   // 000000004744: 807C2FFF 00000500
	buffer_load_dword v23, s[4:7], 0 offen lds                 // 00000000474C: E0511000 80010017
	v_mfma_f32_16x16x16_bf16 v[44:47], a[92:93], a[52:53], v[44:47]// 000000004754: D3E1002C 1CB2695C
	s_add_u32 m0, 0x600, s47                                   // 00000000475C: 807C2FFF 00000600
	buffer_load_dword v24, s[4:7], 0 offen lds                 // 000000004764: E0511000 80010018
	ds_read_b128 a[24:27], v28 offset:22272                    // 00000000476C: DBFE5700 1800001C
	ds_read_b128 a[28:31], v28 offset:22336                    // 000000004774: DBFE5740 1C00001C
	v_mfma_f32_16x16x16_bf16 v[44:47], a[94:95], a[54:55], v[44:47]// 00000000477C: D3E1002C 1CB26D5E
	s_add_u32 m0, 0x700, s47                                   // 000000004784: 807C2FFF 00000700
	buffer_load_dword v25, s[4:7], 0 offen lds                 // 00000000478C: E0511000 80010019
	v_mfma_f32_16x16x16_bf16 v[48:51], a[88:89], a[56:57], v[48:51]// 000000004794: D3E10030 1CC27158
	s_add_u32 m0, 0x800, s47                                   // 00000000479C: 807C2FFF 00000800
	buffer_load_dword v26, s[4:7], 0 offen lds                 // 0000000047A4: E0511000 8001001A
	ds_read_b128 a[32:35], v28 offset:22784                    // 0000000047AC: DBFE5900 2000001C
	ds_read_b128 a[36:39], v28 offset:22848                    // 0000000047B4: DBFE5940 2400001C
	v_mfma_f32_16x16x16_bf16 v[48:51], a[90:91], a[58:59], v[48:51]// 0000000047BC: D3E10030 1CC2755A
	s_add_u32 m0, 0x900, s47                                   // 0000000047C4: 807C2FFF 00000900
	buffer_load_dword v27, s[4:7], 0 offen lds                 // 0000000047CC: E0511000 8001001B
	v_mfma_f32_16x16x16_bf16 v[48:51], a[92:93], a[60:61], v[48:51]// 0000000047D4: D3E10030 1CC2795C
	s_add_u32 s31, 0x100, s33                                  // 0000000047DC: 801F21FF 00000100
	s_cmp_lt_u32 s31, s34                                      // 0000000047E4: BF0A221F
	s_cselect_b32 s44, s44, 0                                  // 0000000047E8: 852C802C
	s_add_u32 m0, 0, s50                                       // 0000000047EC: 807C3280
	buffer_load_dword v29, s[8:11], 0 offen lds                // 0000000047F0: E0511000 8002001D
	s_add_u32 s4, s44, s4                                      // 0000000047F8: 8004042C
	s_addc_u32 s5, 0, s5                                       // 0000000047FC: 82050580
	ds_read_b128 a[80:83], v37 offset:47744                    // 000000004800: DBFEBA80 50000025
	ds_read_b128 a[84:87], v37 offset:47808                    // 000000004808: DBFEBAC0 54000025
	v_mfma_f32_16x16x16_bf16 v[48:51], a[94:95], a[62:63], v[48:51]// 000000004810: D3E10030 1CC27D5E
	s_add_u32 m0, 0x100, s50                                   // 000000004818: 807C32FF 00000100
	buffer_load_dword v30, s[8:11], 0 offen lds                // 000000004820: E0511000 8002001E
	v_mfma_f32_16x16x16_bf16 v[52:55], a[88:89], a[64:65], v[52:55]// 000000004828: D3E10034 1CD28158
	s_add_u32 m0, 0x200, s50                                   // 000000004830: 807C32FF 00000200
	buffer_load_dword v31, s[8:11], 0 offen lds                // 000000004838: E0511000 8002001F
	v_mfma_f32_16x16x16_bf16 v[52:55], a[90:91], a[66:67], v[52:55]// 000000004840: D3E10034 1CD2855A
	s_add_u32 m0, 0x300, s50                                   // 000000004848: 807C32FF 00000300
	buffer_load_dword v32, s[8:11], 0 offen lds                // 000000004850: E0511000 80020020
	v_mfma_f32_16x16x16_bf16 v[52:55], a[92:93], a[68:69], v[52:55]// 000000004858: D3E10034 1CD2895C
	s_add_u32 m0, 0x400, s50                                   // 000000004860: 807C32FF 00000400
	buffer_load_dword v33, s[8:11], 0 offen lds                // 000000004868: E0511000 80020021
	v_mfma_f32_16x16x16_bf16 v[52:55], a[94:95], a[70:71], v[52:55]// 000000004870: D3E10034 1CD28D5E
	s_add_u32 m0, 0x500, s50                                   // 000000004878: 807C32FF 00000500
	buffer_load_dword v34, s[8:11], 0 offen lds                // 000000004880: E0511000 80020022
	v_mfma_f32_16x16x16_bf16 v[56:59], a[88:89], a[72:73], v[56:59]// 000000004888: D3E10038 1CE29158
	s_add_u32 m0, 0x600, s50                                   // 000000004890: 807C32FF 00000600
	buffer_load_dword v35, s[8:11], 0 offen lds                // 000000004898: E0511000 80020023
	v_mfma_f32_16x16x16_bf16 v[56:59], a[90:91], a[74:75], v[56:59]// 0000000048A0: D3E10038 1CE2955A
	s_add_u32 m0, 0x700, s50                                   // 0000000048A8: 807C32FF 00000700
	buffer_load_dword v36, s[8:11], 0 offen lds                // 0000000048B0: E0511000 80020024
	v_mfma_f32_16x16x16_bf16 v[56:59], a[92:93], a[76:77], v[56:59]// 0000000048B8: D3E10038 1CE2995C
	s_add_u32 s31, 0x100, s33                                  // 0000000048C0: 801F21FF 00000100
	s_cmp_lt_u32 s31, s34                                      // 0000000048C8: BF0A221F
	s_cselect_b32 s45, s45, 0                                  // 0000000048CC: 852D802D
	s_add_u32 s8, s45, s8                                      // 0000000048D0: 8008082D
	s_addc_u32 s9, 0, s9                                       // 0000000048D4: 82090980
	v_mfma_f32_16x16x16_bf16 v[56:59], a[94:95], a[78:79], v[56:59]// 0000000048D8: D3E10038 1CE29D5E
	s_addk_i32 s33, 0x40                                       // 0000000048E0: B7210040
	s_cmp_lt_i32 s33, s34                                      // 0000000048E4: BF042221
	s_cbranch_scc0 label_0A18                                  // 0000000048E8: BF84025D
	s_waitcnt vmcnt(18) lgkmcnt(0)                             // 0000000048EC: BF8C4072
	s_barrier                                                  // 0000000048F0: BF8A0000
	v_mfma_f32_16x16x16_bf16 v[40:43], a[80:81], a[0:1], v[40:43]// 0000000048F4: D3E10028 1CA20150
	s_add_u32 m0, 0, s48                                       // 0000000048FC: 807C3080
	buffer_load_dword v18, s[4:7], 0 offen lds                 // 000000004900: E0511000 80010012
	ds_read_b128 a[40:43], v28                                 // 000000004908: DBFE0000 2800001C
	ds_read_b128 a[44:47], v28 offset:64                       // 000000004910: DBFE0040 2C00001C
	v_mfma_f32_16x16x16_bf16 v[40:43], a[82:83], a[2:3], v[40:43]// 000000004918: D3E10028 1CA20552
	s_add_u32 m0, 0x100, s48                                   // 000000004920: 807C30FF 00000100
	buffer_load_dword v19, s[4:7], 0 offen lds                 // 000000004928: E0511000 80010013
	v_mfma_f32_16x16x16_bf16 v[40:43], a[84:85], a[4:5], v[40:43]// 000000004930: D3E10028 1CA20954
	s_add_u32 m0, 0x200, s48                                   // 000000004938: 807C30FF 00000200
	buffer_load_dword v20, s[4:7], 0 offen lds                 // 000000004940: E0511000 80010014
	ds_read_b128 a[48:51], v28 offset:512                      // 000000004948: DBFE0200 3000001C
	ds_read_b128 a[52:55], v28 offset:576                      // 000000004950: DBFE0240 3400001C
	v_mfma_f32_16x16x16_bf16 v[40:43], a[86:87], a[6:7], v[40:43]// 000000004958: D3E10028 1CA20D56
	s_add_u32 m0, 0x300, s48                                   // 000000004960: 807C30FF 00000300
	buffer_load_dword v21, s[4:7], 0 offen lds                 // 000000004968: E0511000 80010015
	v_mfma_f32_16x16x16_bf16 v[44:47], a[80:81], a[8:9], v[44:47]// 000000004970: D3E1002C 1CB21150
	s_add_u32 m0, 0x400, s48                                   // 000000004978: 807C30FF 00000400
	buffer_load_dword v22, s[4:7], 0 offen lds                 // 000000004980: E0511000 80010016
	ds_read_b128 a[56:59], v28 offset:1024                     // 000000004988: DBFE0400 3800001C
	ds_read_b128 a[60:63], v28 offset:1088                     // 000000004990: DBFE0440 3C00001C
	v_mfma_f32_16x16x16_bf16 v[44:47], a[82:83], a[10:11], v[44:47]// 000000004998: D3E1002C 1CB21552
	s_add_u32 m0, 0x500, s48                                   // 0000000049A0: 807C30FF 00000500
	buffer_load_dword v23, s[4:7], 0 offen lds                 // 0000000049A8: E0511000 80010017
	v_mfma_f32_16x16x16_bf16 v[44:47], a[84:85], a[12:13], v[44:47]// 0000000049B0: D3E1002C 1CB21954
	s_add_u32 m0, 0x600, s48                                   // 0000000049B8: 807C30FF 00000600
	buffer_load_dword v24, s[4:7], 0 offen lds                 // 0000000049C0: E0511000 80010018
	ds_read_b128 a[64:67], v28 offset:1536                     // 0000000049C8: DBFE0600 4000001C
	ds_read_b128 a[68:71], v28 offset:1600                     // 0000000049D0: DBFE0640 4400001C
	v_mfma_f32_16x16x16_bf16 v[44:47], a[86:87], a[14:15], v[44:47]// 0000000049D8: D3E1002C 1CB21D56
	s_add_u32 m0, 0x700, s48                                   // 0000000049E0: 807C30FF 00000700
	buffer_load_dword v25, s[4:7], 0 offen lds                 // 0000000049E8: E0511000 80010019
	v_mfma_f32_16x16x16_bf16 v[48:51], a[80:81], a[16:17], v[48:51]// 0000000049F0: D3E10030 1CC22150
	s_add_u32 m0, 0x800, s48                                   // 0000000049F8: 807C30FF 00000800
	buffer_load_dword v26, s[4:7], 0 offen lds                 // 000000004A00: E0511000 8001001A
	ds_read_b128 a[72:75], v28 offset:2048                     // 000000004A08: DBFE0800 4800001C
	ds_read_b128 a[76:79], v28 offset:2112                     // 000000004A10: DBFE0840 4C00001C
	v_mfma_f32_16x16x16_bf16 v[48:51], a[82:83], a[18:19], v[48:51]// 000000004A18: D3E10030 1CC22552
	s_add_u32 m0, 0x900, s48                                   // 000000004A20: 807C30FF 00000900
	buffer_load_dword v27, s[4:7], 0 offen lds                 // 000000004A28: E0511000 8001001B
	v_mfma_f32_16x16x16_bf16 v[48:51], a[84:85], a[20:21], v[48:51]// 000000004A30: D3E10030 1CC22954
	s_add_u32 s31, 0x100, s33                                  // 000000004A38: 801F21FF 00000100
	s_cmp_lt_u32 s31, s34                                      // 000000004A40: BF0A221F
	s_cselect_b32 s44, s44, 0                                  // 000000004A44: 852C802C
	s_add_u32 m0, 0, s51                                       // 000000004A48: 807C3380
	buffer_load_dword v29, s[8:11], 0 offen lds                // 000000004A4C: E0511000 8002001D
	s_add_u32 s4, s44, s4                                      // 000000004A54: 8004042C
	s_addc_u32 s5, 0, s5                                       // 000000004A58: 82050580
	ds_read_b128 a[88:91], v37 offset:31104                    // 000000004A5C: DBFE7980 58000025
	ds_read_b128 a[92:95], v37 offset:31168                    // 000000004A64: DBFE79C0 5C000025
	v_mfma_f32_16x16x16_bf16 v[48:51], a[86:87], a[22:23], v[48:51]// 000000004A6C: D3E10030 1CC22D56
	s_add_u32 m0, 0x100, s51                                   // 000000004A74: 807C33FF 00000100
	buffer_load_dword v30, s[8:11], 0 offen lds                // 000000004A7C: E0511000 8002001E
	v_mfma_f32_16x16x16_bf16 v[52:55], a[80:81], a[24:25], v[52:55]// 000000004A84: D3E10034 1CD23150
	s_add_u32 m0, 0x200, s51                                   // 000000004A8C: 807C33FF 00000200
	buffer_load_dword v31, s[8:11], 0 offen lds                // 000000004A94: E0511000 8002001F
	v_mfma_f32_16x16x16_bf16 v[52:55], a[82:83], a[26:27], v[52:55]// 000000004A9C: D3E10034 1CD23552
	s_add_u32 m0, 0x300, s51                                   // 000000004AA4: 807C33FF 00000300
	buffer_load_dword v32, s[8:11], 0 offen lds                // 000000004AAC: E0511000 80020020
	v_mfma_f32_16x16x16_bf16 v[52:55], a[84:85], a[28:29], v[52:55]// 000000004AB4: D3E10034 1CD23954
	s_add_u32 m0, 0x400, s51                                   // 000000004ABC: 807C33FF 00000400
	buffer_load_dword v33, s[8:11], 0 offen lds                // 000000004AC4: E0511000 80020021
	v_mfma_f32_16x16x16_bf16 v[52:55], a[86:87], a[30:31], v[52:55]// 000000004ACC: D3E10034 1CD23D56
	s_add_u32 m0, 0x500, s51                                   // 000000004AD4: 807C33FF 00000500
	buffer_load_dword v34, s[8:11], 0 offen lds                // 000000004ADC: E0511000 80020022
	v_mfma_f32_16x16x16_bf16 v[56:59], a[80:81], a[32:33], v[56:59]// 000000004AE4: D3E10038 1CE24150
	s_add_u32 m0, 0x600, s51                                   // 000000004AEC: 807C33FF 00000600
	buffer_load_dword v35, s[8:11], 0 offen lds                // 000000004AF4: E0511000 80020023
	v_mfma_f32_16x16x16_bf16 v[56:59], a[82:83], a[34:35], v[56:59]// 000000004AFC: D3E10038 1CE24552
	s_add_u32 m0, 0x700, s51                                   // 000000004B04: 807C33FF 00000700
	buffer_load_dword v36, s[8:11], 0 offen lds                // 000000004B0C: E0511000 80020024
	v_mfma_f32_16x16x16_bf16 v[56:59], a[84:85], a[36:37], v[56:59]// 000000004B14: D3E10038 1CE24954
	s_add_u32 s31, 0x100, s33                                  // 000000004B1C: 801F21FF 00000100
	s_cmp_lt_u32 s31, s34                                      // 000000004B24: BF0A221F
	s_cselect_b32 s45, s45, 0                                  // 000000004B28: 852D802D
	s_add_u32 s8, s45, s8                                      // 000000004B2C: 8008082D
	s_addc_u32 s9, 0, s9                                       // 000000004B30: 82090980
	v_mfma_f32_16x16x16_bf16 v[56:59], a[86:87], a[38:39], v[56:59]// 000000004B34: D3E10038 1CE24D56
	s_addk_i32 s33, 0x40                                       // 000000004B3C: B7210040
	s_cmp_lt_i32 s33, s34                                      // 000000004B40: BF042221
	s_cbranch_scc0 label_0A18                                  // 000000004B44: BF8401C6
	s_waitcnt vmcnt(18) lgkmcnt(0)                             // 000000004B48: BF8C4072
	s_barrier                                                  // 000000004B4C: BF8A0000
	v_mfma_f32_16x16x16_bf16 v[40:43], a[88:89], a[40:41], v[40:43]// 000000004B50: D3E10028 1CA25158
	s_add_u32 m0, 0, s46                                       // 000000004B58: 807C2E80
	buffer_load_dword v18, s[4:7], 0 offen lds                 // 000000004B5C: E0511000 80010012
	ds_read_b128 a[0:3], v28 offset:10368                      // 000000004B64: DBFE2880 0000001C
	ds_read_b128 a[4:7], v28 offset:10432                      // 000000004B6C: DBFE28C0 0400001C
	v_mfma_f32_16x16x16_bf16 v[40:43], a[90:91], a[42:43], v[40:43]// 000000004B74: D3E10028 1CA2555A
	s_add_u32 m0, 0x100, s46                                   // 000000004B7C: 807C2EFF 00000100
	buffer_load_dword v19, s[4:7], 0 offen lds                 // 000000004B84: E0511000 80010013
	v_mfma_f32_16x16x16_bf16 v[40:43], a[92:93], a[44:45], v[40:43]// 000000004B8C: D3E10028 1CA2595C
	s_add_u32 m0, 0x200, s46                                   // 000000004B94: 807C2EFF 00000200
	buffer_load_dword v20, s[4:7], 0 offen lds                 // 000000004B9C: E0511000 80010014
	ds_read_b128 a[8:11], v28 offset:10880                     // 000000004BA4: DBFE2A80 0800001C
	ds_read_b128 a[12:15], v28 offset:10944                    // 000000004BAC: DBFE2AC0 0C00001C
	v_mfma_f32_16x16x16_bf16 v[40:43], a[94:95], a[46:47], v[40:43]// 000000004BB4: D3E10028 1CA25D5E
	s_add_u32 m0, 0x300, s46                                   // 000000004BBC: 807C2EFF 00000300
	buffer_load_dword v21, s[4:7], 0 offen lds                 // 000000004BC4: E0511000 80010015
	v_mfma_f32_16x16x16_bf16 v[44:47], a[88:89], a[48:49], v[44:47]// 000000004BCC: D3E1002C 1CB26158
	s_add_u32 m0, 0x400, s46                                   // 000000004BD4: 807C2EFF 00000400
	buffer_load_dword v22, s[4:7], 0 offen lds                 // 000000004BDC: E0511000 80010016
	ds_read_b128 a[16:19], v28 offset:11392                    // 000000004BE4: DBFE2C80 1000001C
	ds_read_b128 a[20:23], v28 offset:11456                    // 000000004BEC: DBFE2CC0 1400001C
	v_mfma_f32_16x16x16_bf16 v[44:47], a[90:91], a[50:51], v[44:47]// 000000004BF4: D3E1002C 1CB2655A
	s_add_u32 m0, 0x500, s46                                   // 000000004BFC: 807C2EFF 00000500
	buffer_load_dword v23, s[4:7], 0 offen lds                 // 000000004C04: E0511000 80010017
	v_mfma_f32_16x16x16_bf16 v[44:47], a[92:93], a[52:53], v[44:47]// 000000004C0C: D3E1002C 1CB2695C
	s_add_u32 m0, 0x600, s46                                   // 000000004C14: 807C2EFF 00000600
	buffer_load_dword v24, s[4:7], 0 offen lds                 // 000000004C1C: E0511000 80010018
	ds_read_b128 a[24:27], v28 offset:11904                    // 000000004C24: DBFE2E80 1800001C
	ds_read_b128 a[28:31], v28 offset:11968                    // 000000004C2C: DBFE2EC0 1C00001C
	v_mfma_f32_16x16x16_bf16 v[44:47], a[94:95], a[54:55], v[44:47]// 000000004C34: D3E1002C 1CB26D5E
	s_add_u32 m0, 0x700, s46                                   // 000000004C3C: 807C2EFF 00000700
	buffer_load_dword v25, s[4:7], 0 offen lds                 // 000000004C44: E0511000 80010019
	v_mfma_f32_16x16x16_bf16 v[48:51], a[88:89], a[56:57], v[48:51]// 000000004C4C: D3E10030 1CC27158
	s_add_u32 m0, 0x800, s46                                   // 000000004C54: 807C2EFF 00000800
	buffer_load_dword v26, s[4:7], 0 offen lds                 // 000000004C5C: E0511000 8001001A
	ds_read_b128 a[32:35], v28 offset:12416                    // 000000004C64: DBFE3080 2000001C
	ds_read_b128 a[36:39], v28 offset:12480                    // 000000004C6C: DBFE30C0 2400001C
	v_mfma_f32_16x16x16_bf16 v[48:51], a[90:91], a[58:59], v[48:51]// 000000004C74: D3E10030 1CC2755A
	s_add_u32 m0, 0x900, s46                                   // 000000004C7C: 807C2EFF 00000900
	buffer_load_dword v27, s[4:7], 0 offen lds                 // 000000004C84: E0511000 8001001B
	v_mfma_f32_16x16x16_bf16 v[48:51], a[92:93], a[60:61], v[48:51]// 000000004C8C: D3E10030 1CC2795C
	s_add_u32 s31, 0x100, s33                                  // 000000004C94: 801F21FF 00000100
	s_cmp_lt_u32 s31, s34                                      // 000000004C9C: BF0A221F
	s_cselect_b32 s44, s44, 0                                  // 000000004CA0: 852C802C
	s_add_u32 m0, 0, s49                                       // 000000004CA4: 807C3180
	buffer_load_dword v29, s[8:11], 0 offen lds                // 000000004CA8: E0511000 8002001D
	s_add_u32 s4, s44, s4                                      // 000000004CB0: 8004042C
	s_addc_u32 s5, 0, s5                                       // 000000004CB4: 82050580
	ds_read_b128 a[80:83], v37 offset:39424                    // 000000004CB8: DBFE9A00 50000025
	ds_read_b128 a[84:87], v37 offset:39488                    // 000000004CC0: DBFE9A40 54000025
	v_mfma_f32_16x16x16_bf16 v[48:51], a[94:95], a[62:63], v[48:51]// 000000004CC8: D3E10030 1CC27D5E
	s_add_u32 m0, 0x100, s49                                   // 000000004CD0: 807C31FF 00000100
	buffer_load_dword v30, s[8:11], 0 offen lds                // 000000004CD8: E0511000 8002001E
	v_mfma_f32_16x16x16_bf16 v[52:55], a[88:89], a[64:65], v[52:55]// 000000004CE0: D3E10034 1CD28158
	s_add_u32 m0, 0x200, s49                                   // 000000004CE8: 807C31FF 00000200
	buffer_load_dword v31, s[8:11], 0 offen lds                // 000000004CF0: E0511000 8002001F
	v_mfma_f32_16x16x16_bf16 v[52:55], a[90:91], a[66:67], v[52:55]// 000000004CF8: D3E10034 1CD2855A
	s_add_u32 m0, 0x300, s49                                   // 000000004D00: 807C31FF 00000300
	buffer_load_dword v32, s[8:11], 0 offen lds                // 000000004D08: E0511000 80020020
	v_mfma_f32_16x16x16_bf16 v[52:55], a[92:93], a[68:69], v[52:55]// 000000004D10: D3E10034 1CD2895C
	s_add_u32 m0, 0x400, s49                                   // 000000004D18: 807C31FF 00000400
	buffer_load_dword v33, s[8:11], 0 offen lds                // 000000004D20: E0511000 80020021
	v_mfma_f32_16x16x16_bf16 v[52:55], a[94:95], a[70:71], v[52:55]// 000000004D28: D3E10034 1CD28D5E
	s_add_u32 m0, 0x500, s49                                   // 000000004D30: 807C31FF 00000500
	buffer_load_dword v34, s[8:11], 0 offen lds                // 000000004D38: E0511000 80020022
	v_mfma_f32_16x16x16_bf16 v[56:59], a[88:89], a[72:73], v[56:59]// 000000004D40: D3E10038 1CE29158
	s_add_u32 m0, 0x600, s49                                   // 000000004D48: 807C31FF 00000600
	buffer_load_dword v35, s[8:11], 0 offen lds                // 000000004D50: E0511000 80020023
	v_mfma_f32_16x16x16_bf16 v[56:59], a[90:91], a[74:75], v[56:59]// 000000004D58: D3E10038 1CE2955A
	s_add_u32 m0, 0x700, s49                                   // 000000004D60: 807C31FF 00000700
	buffer_load_dword v36, s[8:11], 0 offen lds                // 000000004D68: E0511000 80020024
	v_mfma_f32_16x16x16_bf16 v[56:59], a[92:93], a[76:77], v[56:59]// 000000004D70: D3E10038 1CE2995C
	s_add_u32 s31, 0x100, s33                                  // 000000004D78: 801F21FF 00000100
	s_cmp_lt_u32 s31, s34                                      // 000000004D80: BF0A221F
	s_cselect_b32 s45, s45, 0                                  // 000000004D84: 852D802D
	s_add_u32 s8, s45, s8                                      // 000000004D88: 8008082D
	s_addc_u32 s9, 0, s9                                       // 000000004D8C: 82090980
	v_mfma_f32_16x16x16_bf16 v[56:59], a[94:95], a[78:79], v[56:59]// 000000004D90: D3E10038 1CE29D5E
	s_addk_i32 s33, 0x40                                       // 000000004D98: B7210040
	s_cmp_lt_i32 s33, s34                                      // 000000004D9C: BF042221
	s_cbranch_scc0 label_0A18                                  // 000000004DA0: BF84012F
	s_waitcnt vmcnt(18) lgkmcnt(0)                             // 000000004DA4: BF8C4072
	s_barrier                                                  // 000000004DA8: BF8A0000
	v_mfma_f32_16x16x16_bf16 v[40:43], a[80:81], a[0:1], v[40:43]// 000000004DAC: D3E10028 1CA20150
	s_add_u32 m0, 0, s47                                       // 000000004DB4: 807C2F80
	buffer_load_dword v18, s[4:7], 0 offen lds                 // 000000004DB8: E0511000 80010012
	ds_read_b128 a[40:43], v28 offset:20736                    // 000000004DC0: DBFE5100 2800001C
	ds_read_b128 a[44:47], v28 offset:20800                    // 000000004DC8: DBFE5140 2C00001C
	v_mfma_f32_16x16x16_bf16 v[40:43], a[82:83], a[2:3], v[40:43]// 000000004DD0: D3E10028 1CA20552
	s_add_u32 m0, 0x100, s47                                   // 000000004DD8: 807C2FFF 00000100
	buffer_load_dword v19, s[4:7], 0 offen lds                 // 000000004DE0: E0511000 80010013
	v_mfma_f32_16x16x16_bf16 v[40:43], a[84:85], a[4:5], v[40:43]// 000000004DE8: D3E10028 1CA20954
	s_add_u32 m0, 0x200, s47                                   // 000000004DF0: 807C2FFF 00000200
	buffer_load_dword v20, s[4:7], 0 offen lds                 // 000000004DF8: E0511000 80010014
	ds_read_b128 a[48:51], v28 offset:21248                    // 000000004E00: DBFE5300 3000001C
	ds_read_b128 a[52:55], v28 offset:21312                    // 000000004E08: DBFE5340 3400001C
	v_mfma_f32_16x16x16_bf16 v[40:43], a[86:87], a[6:7], v[40:43]// 000000004E10: D3E10028 1CA20D56
	s_add_u32 m0, 0x300, s47                                   // 000000004E18: 807C2FFF 00000300
	buffer_load_dword v21, s[4:7], 0 offen lds                 // 000000004E20: E0511000 80010015
	v_mfma_f32_16x16x16_bf16 v[44:47], a[80:81], a[8:9], v[44:47]// 000000004E28: D3E1002C 1CB21150
	s_add_u32 m0, 0x400, s47                                   // 000000004E30: 807C2FFF 00000400
	buffer_load_dword v22, s[4:7], 0 offen lds                 // 000000004E38: E0511000 80010016
	ds_read_b128 a[56:59], v28 offset:21760                    // 000000004E40: DBFE5500 3800001C
	ds_read_b128 a[60:63], v28 offset:21824                    // 000000004E48: DBFE5540 3C00001C
	v_mfma_f32_16x16x16_bf16 v[44:47], a[82:83], a[10:11], v[44:47]// 000000004E50: D3E1002C 1CB21552
	s_add_u32 m0, 0x500, s47                                   // 000000004E58: 807C2FFF 00000500
	buffer_load_dword v23, s[4:7], 0 offen lds                 // 000000004E60: E0511000 80010017
	v_mfma_f32_16x16x16_bf16 v[44:47], a[84:85], a[12:13], v[44:47]// 000000004E68: D3E1002C 1CB21954
	s_add_u32 m0, 0x600, s47                                   // 000000004E70: 807C2FFF 00000600
	buffer_load_dword v24, s[4:7], 0 offen lds                 // 000000004E78: E0511000 80010018
	ds_read_b128 a[64:67], v28 offset:22272                    // 000000004E80: DBFE5700 4000001C
	ds_read_b128 a[68:71], v28 offset:22336                    // 000000004E88: DBFE5740 4400001C
	v_mfma_f32_16x16x16_bf16 v[44:47], a[86:87], a[14:15], v[44:47]// 000000004E90: D3E1002C 1CB21D56
	s_add_u32 m0, 0x700, s47                                   // 000000004E98: 807C2FFF 00000700
	buffer_load_dword v25, s[4:7], 0 offen lds                 // 000000004EA0: E0511000 80010019
	v_mfma_f32_16x16x16_bf16 v[48:51], a[80:81], a[16:17], v[48:51]// 000000004EA8: D3E10030 1CC22150
	s_add_u32 m0, 0x800, s47                                   // 000000004EB0: 807C2FFF 00000800
	buffer_load_dword v26, s[4:7], 0 offen lds                 // 000000004EB8: E0511000 8001001A
	ds_read_b128 a[72:75], v28 offset:22784                    // 000000004EC0: DBFE5900 4800001C
	ds_read_b128 a[76:79], v28 offset:22848                    // 000000004EC8: DBFE5940 4C00001C
	v_mfma_f32_16x16x16_bf16 v[48:51], a[82:83], a[18:19], v[48:51]// 000000004ED0: D3E10030 1CC22552
	s_add_u32 m0, 0x900, s47                                   // 000000004ED8: 807C2FFF 00000900
	buffer_load_dword v27, s[4:7], 0 offen lds                 // 000000004EE0: E0511000 8001001B
	v_mfma_f32_16x16x16_bf16 v[48:51], a[84:85], a[20:21], v[48:51]// 000000004EE8: D3E10030 1CC22954
	s_add_u32 s31, 0x100, s33                                  // 000000004EF0: 801F21FF 00000100
	s_cmp_lt_u32 s31, s34                                      // 000000004EF8: BF0A221F
	s_cselect_b32 s44, s44, 0                                  // 000000004EFC: 852C802C
	s_add_u32 m0, 0, s50                                       // 000000004F00: 807C3280
	buffer_load_dword v29, s[8:11], 0 offen lds                // 000000004F04: E0511000 8002001D
	s_add_u32 s4, s44, s4                                      // 000000004F0C: 8004042C
	s_addc_u32 s5, 0, s5                                       // 000000004F10: 82050580
	ds_read_b128 a[88:91], v37 offset:47744                    // 000000004F14: DBFEBA80 58000025
	ds_read_b128 a[92:95], v37 offset:47808                    // 000000004F1C: DBFEBAC0 5C000025
	v_mfma_f32_16x16x16_bf16 v[48:51], a[86:87], a[22:23], v[48:51]// 000000004F24: D3E10030 1CC22D56
	s_add_u32 m0, 0x100, s50                                   // 000000004F2C: 807C32FF 00000100
	buffer_load_dword v30, s[8:11], 0 offen lds                // 000000004F34: E0511000 8002001E
	v_mfma_f32_16x16x16_bf16 v[52:55], a[80:81], a[24:25], v[52:55]// 000000004F3C: D3E10034 1CD23150
	s_add_u32 m0, 0x200, s50                                   // 000000004F44: 807C32FF 00000200
	buffer_load_dword v31, s[8:11], 0 offen lds                // 000000004F4C: E0511000 8002001F
	v_mfma_f32_16x16x16_bf16 v[52:55], a[82:83], a[26:27], v[52:55]// 000000004F54: D3E10034 1CD23552
	s_add_u32 m0, 0x300, s50                                   // 000000004F5C: 807C32FF 00000300
	buffer_load_dword v32, s[8:11], 0 offen lds                // 000000004F64: E0511000 80020020
	v_mfma_f32_16x16x16_bf16 v[52:55], a[84:85], a[28:29], v[52:55]// 000000004F6C: D3E10034 1CD23954
	s_add_u32 m0, 0x400, s50                                   // 000000004F74: 807C32FF 00000400
	buffer_load_dword v33, s[8:11], 0 offen lds                // 000000004F7C: E0511000 80020021
	v_mfma_f32_16x16x16_bf16 v[52:55], a[86:87], a[30:31], v[52:55]// 000000004F84: D3E10034 1CD23D56
	s_add_u32 m0, 0x500, s50                                   // 000000004F8C: 807C32FF 00000500
	buffer_load_dword v34, s[8:11], 0 offen lds                // 000000004F94: E0511000 80020022
	v_mfma_f32_16x16x16_bf16 v[56:59], a[80:81], a[32:33], v[56:59]// 000000004F9C: D3E10038 1CE24150
	s_add_u32 m0, 0x600, s50                                   // 000000004FA4: 807C32FF 00000600
	buffer_load_dword v35, s[8:11], 0 offen lds                // 000000004FAC: E0511000 80020023
	v_mfma_f32_16x16x16_bf16 v[56:59], a[82:83], a[34:35], v[56:59]// 000000004FB4: D3E10038 1CE24552
	s_add_u32 m0, 0x700, s50                                   // 000000004FBC: 807C32FF 00000700
	buffer_load_dword v36, s[8:11], 0 offen lds                // 000000004FC4: E0511000 80020024
	v_mfma_f32_16x16x16_bf16 v[56:59], a[84:85], a[36:37], v[56:59]// 000000004FCC: D3E10038 1CE24954
	s_add_u32 s31, 0x100, s33                                  // 000000004FD4: 801F21FF 00000100
	s_cmp_lt_u32 s31, s34                                      // 000000004FDC: BF0A221F
	s_cselect_b32 s45, s45, 0                                  // 000000004FE0: 852D802D
	s_add_u32 s8, s45, s8                                      // 000000004FE4: 8008082D
	s_addc_u32 s9, 0, s9                                       // 000000004FE8: 82090980
	v_mfma_f32_16x16x16_bf16 v[56:59], a[86:87], a[38:39], v[56:59]// 000000004FEC: D3E10038 1CE24D56
	s_addk_i32 s33, 0x40                                       // 000000004FF4: B7210040
	s_cmp_lt_i32 s33, s34                                      // 000000004FF8: BF042221
	s_cbranch_scc0 label_0A18                                  // 000000004FFC: BF840098
	s_waitcnt vmcnt(18) lgkmcnt(0)                             // 000000005000: BF8C4072
	s_barrier                                                  // 000000005004: BF8A0000
	v_mfma_f32_16x16x16_bf16 v[40:43], a[88:89], a[40:41], v[40:43]// 000000005008: D3E10028 1CA25158
	s_add_u32 m0, 0, s48                                       // 000000005010: 807C3080
	buffer_load_dword v18, s[4:7], 0 offen lds                 // 000000005014: E0511000 80010012
	ds_read_b128 a[0:3], v28                                   // 00000000501C: DBFE0000 0000001C
	ds_read_b128 a[4:7], v28 offset:64                         // 000000005024: DBFE0040 0400001C
	v_mfma_f32_16x16x16_bf16 v[40:43], a[90:91], a[42:43], v[40:43]// 00000000502C: D3E10028 1CA2555A
	s_add_u32 m0, 0x100, s48                                   // 000000005034: 807C30FF 00000100
	buffer_load_dword v19, s[4:7], 0 offen lds                 // 00000000503C: E0511000 80010013
	v_mfma_f32_16x16x16_bf16 v[40:43], a[92:93], a[44:45], v[40:43]// 000000005044: D3E10028 1CA2595C
	s_add_u32 m0, 0x200, s48                                   // 00000000504C: 807C30FF 00000200
	buffer_load_dword v20, s[4:7], 0 offen lds                 // 000000005054: E0511000 80010014
	ds_read_b128 a[8:11], v28 offset:512                       // 00000000505C: DBFE0200 0800001C
	ds_read_b128 a[12:15], v28 offset:576                      // 000000005064: DBFE0240 0C00001C
	v_mfma_f32_16x16x16_bf16 v[40:43], a[94:95], a[46:47], v[40:43]// 00000000506C: D3E10028 1CA25D5E
	s_add_u32 m0, 0x300, s48                                   // 000000005074: 807C30FF 00000300
	buffer_load_dword v21, s[4:7], 0 offen lds                 // 00000000507C: E0511000 80010015
	v_mfma_f32_16x16x16_bf16 v[44:47], a[88:89], a[48:49], v[44:47]// 000000005084: D3E1002C 1CB26158
	s_add_u32 m0, 0x400, s48                                   // 00000000508C: 807C30FF 00000400
	buffer_load_dword v22, s[4:7], 0 offen lds                 // 000000005094: E0511000 80010016
	ds_read_b128 a[16:19], v28 offset:1024                     // 00000000509C: DBFE0400 1000001C
	ds_read_b128 a[20:23], v28 offset:1088                     // 0000000050A4: DBFE0440 1400001C
	v_mfma_f32_16x16x16_bf16 v[44:47], a[90:91], a[50:51], v[44:47]// 0000000050AC: D3E1002C 1CB2655A
	s_add_u32 m0, 0x500, s48                                   // 0000000050B4: 807C30FF 00000500
	buffer_load_dword v23, s[4:7], 0 offen lds                 // 0000000050BC: E0511000 80010017
	v_mfma_f32_16x16x16_bf16 v[44:47], a[92:93], a[52:53], v[44:47]// 0000000050C4: D3E1002C 1CB2695C
	s_add_u32 m0, 0x600, s48                                   // 0000000050CC: 807C30FF 00000600
	buffer_load_dword v24, s[4:7], 0 offen lds                 // 0000000050D4: E0511000 80010018
	ds_read_b128 a[24:27], v28 offset:1536                     // 0000000050DC: DBFE0600 1800001C
	ds_read_b128 a[28:31], v28 offset:1600                     // 0000000050E4: DBFE0640 1C00001C
	v_mfma_f32_16x16x16_bf16 v[44:47], a[94:95], a[54:55], v[44:47]// 0000000050EC: D3E1002C 1CB26D5E
	s_add_u32 m0, 0x700, s48                                   // 0000000050F4: 807C30FF 00000700
	buffer_load_dword v25, s[4:7], 0 offen lds                 // 0000000050FC: E0511000 80010019
	v_mfma_f32_16x16x16_bf16 v[48:51], a[88:89], a[56:57], v[48:51]// 000000005104: D3E10030 1CC27158
	s_add_u32 m0, 0x800, s48                                   // 00000000510C: 807C30FF 00000800
	buffer_load_dword v26, s[4:7], 0 offen lds                 // 000000005114: E0511000 8001001A
	ds_read_b128 a[32:35], v28 offset:2048                     // 00000000511C: DBFE0800 2000001C
	ds_read_b128 a[36:39], v28 offset:2112                     // 000000005124: DBFE0840 2400001C
	v_mfma_f32_16x16x16_bf16 v[48:51], a[90:91], a[58:59], v[48:51]// 00000000512C: D3E10030 1CC2755A
	s_add_u32 m0, 0x900, s48                                   // 000000005134: 807C30FF 00000900
	buffer_load_dword v27, s[4:7], 0 offen lds                 // 00000000513C: E0511000 8001001B
	v_mfma_f32_16x16x16_bf16 v[48:51], a[92:93], a[60:61], v[48:51]// 000000005144: D3E10030 1CC2795C
	s_add_u32 s31, 0x100, s33                                  // 00000000514C: 801F21FF 00000100
	s_cmp_lt_u32 s31, s34                                      // 000000005154: BF0A221F
	s_cselect_b32 s44, s44, 0                                  // 000000005158: 852C802C
	s_add_u32 m0, 0, s51                                       // 00000000515C: 807C3380
	buffer_load_dword v29, s[8:11], 0 offen lds                // 000000005160: E0511000 8002001D
	s_add_u32 s4, s44, s4                                      // 000000005168: 8004042C
	s_addc_u32 s5, 0, s5                                       // 00000000516C: 82050580
	ds_read_b128 a[80:83], v37 offset:31104                    // 000000005170: DBFE7980 50000025
	ds_read_b128 a[84:87], v37 offset:31168                    // 000000005178: DBFE79C0 54000025
	v_mfma_f32_16x16x16_bf16 v[48:51], a[94:95], a[62:63], v[48:51]// 000000005180: D3E10030 1CC27D5E
	s_add_u32 m0, 0x100, s51                                   // 000000005188: 807C33FF 00000100
	buffer_load_dword v30, s[8:11], 0 offen lds                // 000000005190: E0511000 8002001E
	v_mfma_f32_16x16x16_bf16 v[52:55], a[88:89], a[64:65], v[52:55]// 000000005198: D3E10034 1CD28158
	s_add_u32 m0, 0x200, s51                                   // 0000000051A0: 807C33FF 00000200
	buffer_load_dword v31, s[8:11], 0 offen lds                // 0000000051A8: E0511000 8002001F
	v_mfma_f32_16x16x16_bf16 v[52:55], a[90:91], a[66:67], v[52:55]// 0000000051B0: D3E10034 1CD2855A
	s_add_u32 m0, 0x300, s51                                   // 0000000051B8: 807C33FF 00000300
	buffer_load_dword v32, s[8:11], 0 offen lds                // 0000000051C0: E0511000 80020020
	v_mfma_f32_16x16x16_bf16 v[52:55], a[92:93], a[68:69], v[52:55]// 0000000051C8: D3E10034 1CD2895C
	s_add_u32 m0, 0x400, s51                                   // 0000000051D0: 807C33FF 00000400
	buffer_load_dword v33, s[8:11], 0 offen lds                // 0000000051D8: E0511000 80020021
	v_mfma_f32_16x16x16_bf16 v[52:55], a[94:95], a[70:71], v[52:55]// 0000000051E0: D3E10034 1CD28D5E
	s_add_u32 m0, 0x500, s51                                   // 0000000051E8: 807C33FF 00000500
	buffer_load_dword v34, s[8:11], 0 offen lds                // 0000000051F0: E0511000 80020022
	v_mfma_f32_16x16x16_bf16 v[56:59], a[88:89], a[72:73], v[56:59]// 0000000051F8: D3E10038 1CE29158
	s_add_u32 m0, 0x600, s51                                   // 000000005200: 807C33FF 00000600
	buffer_load_dword v35, s[8:11], 0 offen lds                // 000000005208: E0511000 80020023
	v_mfma_f32_16x16x16_bf16 v[56:59], a[90:91], a[74:75], v[56:59]// 000000005210: D3E10038 1CE2955A
	s_add_u32 m0, 0x700, s51                                   // 000000005218: 807C33FF 00000700
	buffer_load_dword v36, s[8:11], 0 offen lds                // 000000005220: E0511000 80020024
	v_mfma_f32_16x16x16_bf16 v[56:59], a[92:93], a[76:77], v[56:59]// 000000005228: D3E10038 1CE2995C
	s_add_u32 s31, 0x100, s33                                  // 000000005230: 801F21FF 00000100
	s_cmp_lt_u32 s31, s34                                      // 000000005238: BF0A221F
	s_cselect_b32 s45, s45, 0                                  // 00000000523C: 852D802D
	s_add_u32 s8, s45, s8                                      // 000000005240: 8008082D
	s_addc_u32 s9, 0, s9                                       // 000000005244: 82090980
	v_mfma_f32_16x16x16_bf16 v[56:59], a[94:95], a[78:79], v[56:59]// 000000005248: D3E10038 1CE29D5E
	s_addk_i32 s33, 0x40                                       // 000000005250: B7210040
	s_cmp_lt_i32 s33, s34                                      // 000000005254: BF042221
	s_cbranch_scc0 label_0A18                                  // 000000005258: BF840001
	s_branch label_068D                                        // 00000000525C: BF82FC75

0000000000005260 <label_0A18>:
	s_cmp_le_u32 s52, 1                                        // 000000005260: BF0B8134
	s_cbranch_scc1 label_0E6A                                  // 000000005264: BF850450
	s_mov_b32 s31, 0x50                                        // 000000005268: BE9F00FF 00000050
	s_cmp_lt_u32 s55, s31                                      // 000000005270: BF0A1F37
	s_cbranch_scc1 label_0BCB                                  // 000000005274: BF8501AD
	v_mov_b32_e32 v5, 0                                        // 000000005278: 7E0A0280
	s_and_b32 s17, s17, 0xffff                                 // 00000000527C: 8611FF11 0000FFFF
	s_cmp_lt_u32 s54, 1                                        // 000000005284: BF0A8136
	s_cbranch_scc0 label_0ACE                                  // 000000005288: BF8400AB
	v_lshrrev_b32_e32 v4, 4, v0                                // 00000000528C: 20080084
	v_mul_u32_u24_e32 v28, 0x44, v4                            // 000000005290: 103808FF 00000044
	v_and_b32_e32 v4, 15, v0                                   // 000000005298: 2608008F
	v_mul_lo_u32 v5, 4, v4                                     // 00000000529C: D2850005 00020884
	v_add_u32_e32 v28, v5, v28                                 // 0000000052A4: 68383905
	s_mul_i32 s31, s24, 0x110                                  // 0000000052A8: 921FFF18 00000110
	v_add_u32_e32 v28, s31, v28                                // 0000000052B0: 6838381F
	v_lshlrev_b32_e32 v28, 2, v28                              // 0000000052B4: 24383882
	v_lshrrev_b32_e32 v4, 2, v0                                // 0000000052B8: 20080082
	v_mul_u32_u24_e32 v37, 0x44, v4                            // 0000000052BC: 104A08FF 00000044
	v_and_b32_e32 v4, 3, v0                                    // 0000000052C4: 26080083
	v_add_u32_e32 v37, v4, v37                                 // 0000000052C8: 684A4B04
	s_mul_i32 s31, s24, 4                                      // 0000000052CC: 921F8418
	v_add_u32_e32 v37, s31, v37                                // 0000000052D0: 684A4A1F
	v_lshlrev_b32_e32 v37, 2, v37                              // 0000000052D4: 244A4A82
	s_waitcnt vmcnt(0) expcnt(0) lgkmcnt(0)                    // 0000000052D8: BF8C0000
	s_barrier                                                  // 0000000052DC: BF8A0000
	ds_write_b128 v28, v[40:43]                                // 0000000052E0: D9BE0000 0000281C
	ds_write_b128 v28, v[44:47] offset:4352                    // 0000000052E8: D9BE1100 00002C1C
	ds_write_b128 v28, v[48:51] offset:8704                    // 0000000052F0: D9BE2200 0000301C
	ds_write_b128 v28, v[52:55] offset:13056                   // 0000000052F8: D9BE3300 0000341C
	ds_write_b128 v28, v[56:59] offset:17408                   // 000000005300: D9BE4400 0000381C
	s_waitcnt lgkmcnt(0)                                       // 000000005308: BF8CC07F
	s_barrier                                                  // 00000000530C: BF8A0000
	ds_read_b32 v40, v37                                       // 000000005310: D86C0000 28000025
	ds_read_b32 v41, v37 offset:64                             // 000000005318: D86C0040 29000025
	ds_read_b32 v42, v37 offset:128                            // 000000005320: D86C0080 2A000025
	ds_read_b32 v43, v37 offset:192                            // 000000005328: D86C00C0 2B000025
	ds_read_b32 v44, v37 offset:4352                           // 000000005330: D86C1100 2C000025
	ds_read_b32 v45, v37 offset:4416                           // 000000005338: D86C1140 2D000025
	ds_read_b32 v46, v37 offset:4480                           // 000000005340: D86C1180 2E000025
	ds_read_b32 v47, v37 offset:4544                           // 000000005348: D86C11C0 2F000025
	ds_read_b32 v48, v37 offset:8704                           // 000000005350: D86C2200 30000025
	ds_read_b32 v49, v37 offset:8768                           // 000000005358: D86C2240 31000025
	ds_read_b32 v50, v37 offset:8832                           // 000000005360: D86C2280 32000025
	ds_read_b32 v51, v37 offset:8896                           // 000000005368: D86C22C0 33000025
	ds_read_b32 v52, v37 offset:13056                          // 000000005370: D86C3300 34000025
	ds_read_b32 v53, v37 offset:13120                          // 000000005378: D86C3340 35000025
	ds_read_b32 v54, v37 offset:13184                          // 000000005380: D86C3380 36000025
	ds_read_b32 v55, v37 offset:13248                          // 000000005388: D86C33C0 37000025
	ds_read_b32 v56, v37 offset:17408                          // 000000005390: D86C4400 38000025
	ds_read_b32 v57, v37 offset:17472                          // 000000005398: D86C4440 39000025
	ds_read_b32 v58, v37 offset:17536                          // 0000000053A0: D86C4480 3A000025
	ds_read_b32 v59, v37 offset:17600                          // 0000000053A8: D86C44C0 3B000025
	s_waitcnt lgkmcnt(0)                                       // 0000000053B0: BF8CC07F
	s_cmp_eq_u32 s24, 0                                        // 0000000053B4: BF068018
	s_cbranch_scc0 label_0A75                                  // 0000000053B8: BF840006
	s_mov_b32 s31, 0                                           // 0000000053BC: BE9F0080

00000000000053c0 <label_0A70>:
	s_load_dword s32, s[40:41], s62 glc                        // 0000000053C0: C0010814 0000003E
	s_waitcnt lgkmcnt(0)                                       // 0000000053C8: BF8CC07F
	s_cmp_gt_u32 s32, s31                                      // 0000000053CC: BF081F20
	s_cbranch_scc0 label_0A70                                  // 0000000053D0: BF84FFFB

00000000000053d4 <label_0A75>:
	s_barrier                                                  // 0000000053D4: BF8A0000
	s_mul_i32 s31, s30, 4                                      // 0000000053D8: 921F841E
	v_mov_b32_e32 v4, v17                                      // 0000000053DC: 7E080311
	global_atomic_add_f32 v4, v40, s[16:17]                    // 0000000053E0: DD348000 00102804
	v_add_u32_e64 v4, v4, s31                                  // 0000000053E8: D1340004 00003F04
	global_atomic_add_f32 v4, v41, s[16:17]                    // 0000000053F0: DD348000 00102904
	v_add_u32_e64 v4, v4, s31                                  // 0000000053F8: D1340004 00003F04
	global_atomic_add_f32 v4, v42, s[16:17]                    // 000000005400: DD348000 00102A04
	v_add_u32_e64 v4, v4, s31                                  // 000000005408: D1340004 00003F04
	global_atomic_add_f32 v4, v43, s[16:17]                    // 000000005410: DD348000 00102B04
	v_add_u32_e64 v4, v4, s31                                  // 000000005418: D1340004 00003F04
	global_atomic_add_f32 v4, v44, s[16:17]                    // 000000005420: DD348000 00102C04
	v_add_u32_e64 v4, v4, s31                                  // 000000005428: D1340004 00003F04
	global_atomic_add_f32 v4, v45, s[16:17]                    // 000000005430: DD348000 00102D04
	v_add_u32_e64 v4, v4, s31                                  // 000000005438: D1340004 00003F04
	global_atomic_add_f32 v4, v46, s[16:17]                    // 000000005440: DD348000 00102E04
	v_add_u32_e64 v4, v4, s31                                  // 000000005448: D1340004 00003F04
	global_atomic_add_f32 v4, v47, s[16:17]                    // 000000005450: DD348000 00102F04
	v_add_u32_e64 v4, v4, s31                                  // 000000005458: D1340004 00003F04
	global_atomic_add_f32 v4, v48, s[16:17]                    // 000000005460: DD348000 00103004
	v_add_u32_e64 v4, v4, s31                                  // 000000005468: D1340004 00003F04
	global_atomic_add_f32 v4, v49, s[16:17]                    // 000000005470: DD348000 00103104
	;; [unrolled: 2-line block ×4, first 2 shown]
	v_add_u32_e64 v4, v4, s31                                  // 000000005498: D1340004 00003F04
	global_atomic_add_f32 v4, v52, s[16:17]                    // 0000000054A0: DD348000 00103404
	v_add_u32_e64 v4, v4, s31                                  // 0000000054A8: D1340004 00003F04
	global_atomic_add_f32 v4, v53, s[16:17]                    // 0000000054B0: DD348000 00103504
	v_add_u32_e64 v4, v4, s31                                  // 0000000054B8: D1340004 00003F04
	global_atomic_add_f32 v4, v54, s[16:17]                    // 0000000054C0: DD348000 00103604
	v_add_u32_e64 v4, v4, s31                                  // 0000000054C8: D1340004 00003F04
	global_atomic_add_f32 v4, v55, s[16:17]                    // 0000000054D0: DD348000 00103704
	v_add_u32_e64 v4, v4, s31                                  // 0000000054D8: D1340004 00003F04
	global_atomic_add_f32 v4, v56, s[16:17]                    // 0000000054E0: DD348000 00103804
	v_add_u32_e64 v4, v4, s31                                  // 0000000054E8: D1340004 00003F04
	global_atomic_add_f32 v4, v57, s[16:17]                    // 0000000054F0: DD348000 00103904
	v_add_u32_e64 v4, v4, s31                                  // 0000000054F8: D1340004 00003F04
	global_atomic_add_f32 v4, v58, s[16:17]                    // 000000005500: DD348000 00103A04
	v_add_u32_e64 v4, v4, s31                                  // 000000005508: D1340004 00003F04
	global_atomic_add_f32 v4, v59, s[16:17]                    // 000000005510: DD348000 00103B04
	v_add_u32_e64 v4, v4, s31                                  // 000000005518: D1340004 00003F04
	s_barrier                                                  // 000000005520: BF8A0000
	s_cmp_eq_u32 s24, 0                                        // 000000005524: BF068018
	s_cbranch_scc0 label_0F0D                                  // 000000005528: BF840442
	s_atomic_dec s52, s[40:41], s62                            // 00000000552C: C2300D14 0000003E
	s_branch label_0F0D                                        // 000000005534: BF82043F

0000000000005538 <label_0ACE>:
	v_lshrrev_b32_e32 v4, 4, v0                                // 000000005538: 20080084
	v_mul_u32_u24_e32 v28, 34, v4                              // 00000000553C: 103808A2
	v_and_b32_e32 v4, 15, v0                                   // 000000005540: 2608008F
	v_mul_lo_u32 v5, 2, v4                                     // 000000005544: D2850005 00020882
	v_add_u32_e32 v28, v5, v28                                 // 00000000554C: 68383905
	s_mul_i32 s31, s24, 0x88                                   // 000000005550: 921FFF18 00000088
	v_add_u32_e32 v28, s31, v28                                // 000000005558: 6838381F
	v_lshlrev_b32_e32 v28, 2, v28                              // 00000000555C: 24383882
	v_and_b32_e32 v4, 31, v0                                   // 000000005560: 2608009F
	v_lshrrev_b32_e32 v5, 1, v4                                // 000000005564: 200A0881
	v_mul_u32_u24_e32 v37, 34, v5                              // 000000005568: 104A0AA2
	v_and_b32_e32 v5, 1, v4                                    // 00000000556C: 260A0881
	v_add_u32_e32 v37, v5, v37                                 // 000000005570: 684A4B05
	v_lshrrev_b32_e32 v4, 5, v0                                // 000000005574: 20080085
	v_mul_u32_u24_e32 v4, 8, v4                                // 000000005578: 10080888
	v_add_u32_e32 v37, v4, v37                                 // 00000000557C: 684A4B04
	s_mul_i32 s31, s24, 2                                      // 000000005580: 921F8218
	v_add_u32_e32 v37, s31, v37                                // 000000005584: 684A4A1F
	v_lshlrev_b32_e32 v37, 2, v37                              // 000000005588: 244A4A82
	s_waitcnt vmcnt(0) expcnt(0) lgkmcnt(0)                    // 00000000558C: BF8C0000
	s_barrier                                                  // 000000005590: BF8A0000
	v_cmp_u_f32_e64 s[60:61], v40, v40                         // 000000005594: D048003C 00025128
	v_add3_u32 v8, v40, v11, 1                                 // 00000000559C: D1FF0008 02061728
	v_cndmask_b32_e64 v4, v8, v10, s[60:61]                    // 0000000055A4: D1000004 00F21508
	v_cmp_u_f32_e64 s[60:61], v41, v41                         // 0000000055AC: D048003C 00025329
	v_add3_u32 v8, v41, v11, 1                                 // 0000000055B4: D1FF0008 02061729
	v_cndmask_b32_e64 v5, v8, v10, s[60:61]                    // 0000000055BC: D1000005 00F21508
	v_perm_b32 v60, v5, v4, s35                                // 0000000055C4: D1ED003C 008E0905
	v_cmp_u_f32_e64 s[60:61], v42, v42                         // 0000000055CC: D048003C 0002552A
	v_add3_u32 v8, v42, v11, 1                                 // 0000000055D4: D1FF0008 0206172A
	v_cndmask_b32_e64 v4, v8, v10, s[60:61]                    // 0000000055DC: D1000004 00F21508
	v_cmp_u_f32_e64 s[60:61], v43, v43                         // 0000000055E4: D048003C 0002572B
	v_add3_u32 v8, v43, v11, 1                                 // 0000000055EC: D1FF0008 0206172B
	v_cndmask_b32_e64 v5, v8, v10, s[60:61]                    // 0000000055F4: D1000005 00F21508
	v_perm_b32 v61, v5, v4, s35                                // 0000000055FC: D1ED003D 008E0905
	v_cmp_u_f32_e64 s[60:61], v44, v44                         // 000000005604: D048003C 0002592C
	v_add3_u32 v8, v44, v11, 1                                 // 00000000560C: D1FF0008 0206172C
	v_cndmask_b32_e64 v4, v8, v10, s[60:61]                    // 000000005614: D1000004 00F21508
	v_cmp_u_f32_e64 s[60:61], v45, v45                         // 00000000561C: D048003C 00025B2D
	v_add3_u32 v8, v45, v11, 1                                 // 000000005624: D1FF0008 0206172D
	v_cndmask_b32_e64 v5, v8, v10, s[60:61]                    // 00000000562C: D1000005 00F21508
	v_perm_b32 v62, v5, v4, s35                                // 000000005634: D1ED003E 008E0905
	v_cmp_u_f32_e64 s[60:61], v46, v46                         // 00000000563C: D048003C 00025D2E
	v_add3_u32 v8, v46, v11, 1                                 // 000000005644: D1FF0008 0206172E
	v_cndmask_b32_e64 v4, v8, v10, s[60:61]                    // 00000000564C: D1000004 00F21508
	v_cmp_u_f32_e64 s[60:61], v47, v47                         // 000000005654: D048003C 00025F2F
	v_add3_u32 v8, v47, v11, 1                                 // 00000000565C: D1FF0008 0206172F
	v_cndmask_b32_e64 v5, v8, v10, s[60:61]                    // 000000005664: D1000005 00F21508
	v_perm_b32 v63, v5, v4, s35                                // 00000000566C: D1ED003F 008E0905
	v_cmp_u_f32_e64 s[60:61], v48, v48                         // 000000005674: D048003C 00026130
	v_add3_u32 v8, v48, v11, 1                                 // 00000000567C: D1FF0008 02061730
	v_cndmask_b32_e64 v4, v8, v10, s[60:61]                    // 000000005684: D1000004 00F21508
	v_cmp_u_f32_e64 s[60:61], v49, v49                         // 00000000568C: D048003C 00026331
	v_add3_u32 v8, v49, v11, 1                                 // 000000005694: D1FF0008 02061731
	v_cndmask_b32_e64 v5, v8, v10, s[60:61]                    // 00000000569C: D1000005 00F21508
	v_perm_b32 v64, v5, v4, s35                                // 0000000056A4: D1ED0040 008E0905
	v_cmp_u_f32_e64 s[60:61], v50, v50                         // 0000000056AC: D048003C 00026532
	v_add3_u32 v8, v50, v11, 1                                 // 0000000056B4: D1FF0008 02061732
	v_cndmask_b32_e64 v4, v8, v10, s[60:61]                    // 0000000056BC: D1000004 00F21508
	v_cmp_u_f32_e64 s[60:61], v51, v51                         // 0000000056C4: D048003C 00026733
	v_add3_u32 v8, v51, v11, 1                                 // 0000000056CC: D1FF0008 02061733
	v_cndmask_b32_e64 v5, v8, v10, s[60:61]                    // 0000000056D4: D1000005 00F21508
	v_perm_b32 v65, v5, v4, s35                                // 0000000056DC: D1ED0041 008E0905
	v_cmp_u_f32_e64 s[60:61], v52, v52                         // 0000000056E4: D048003C 00026934
	v_add3_u32 v8, v52, v11, 1                                 // 0000000056EC: D1FF0008 02061734
	v_cndmask_b32_e64 v4, v8, v10, s[60:61]                    // 0000000056F4: D1000004 00F21508
	v_cmp_u_f32_e64 s[60:61], v53, v53                         // 0000000056FC: D048003C 00026B35
	v_add3_u32 v8, v53, v11, 1                                 // 000000005704: D1FF0008 02061735
	v_cndmask_b32_e64 v5, v8, v10, s[60:61]                    // 00000000570C: D1000005 00F21508
	v_perm_b32 v66, v5, v4, s35                                // 000000005714: D1ED0042 008E0905
	v_cmp_u_f32_e64 s[60:61], v54, v54                         // 00000000571C: D048003C 00026D36
	v_add3_u32 v8, v54, v11, 1                                 // 000000005724: D1FF0008 02061736
	v_cndmask_b32_e64 v4, v8, v10, s[60:61]                    // 00000000572C: D1000004 00F21508
	v_cmp_u_f32_e64 s[60:61], v55, v55                         // 000000005734: D048003C 00026F37
	v_add3_u32 v8, v55, v11, 1                                 // 00000000573C: D1FF0008 02061737
	v_cndmask_b32_e64 v5, v8, v10, s[60:61]                    // 000000005744: D1000005 00F21508
	v_perm_b32 v67, v5, v4, s35                                // 00000000574C: D1ED0043 008E0905
	v_cmp_u_f32_e64 s[60:61], v56, v56                         // 000000005754: D048003C 00027138
	v_add3_u32 v8, v56, v11, 1                                 // 00000000575C: D1FF0008 02061738
	v_cndmask_b32_e64 v4, v8, v10, s[60:61]                    // 000000005764: D1000004 00F21508
	v_cmp_u_f32_e64 s[60:61], v57, v57                         // 00000000576C: D048003C 00027339
	v_add3_u32 v8, v57, v11, 1                                 // 000000005774: D1FF0008 02061739
	v_cndmask_b32_e64 v5, v8, v10, s[60:61]                    // 00000000577C: D1000005 00F21508
	v_perm_b32 v68, v5, v4, s35                                // 000000005784: D1ED0044 008E0905
	v_cmp_u_f32_e64 s[60:61], v58, v58                         // 00000000578C: D048003C 0002753A
	v_add3_u32 v8, v58, v11, 1                                 // 000000005794: D1FF0008 0206173A
	v_cndmask_b32_e64 v4, v8, v10, s[60:61]                    // 00000000579C: D1000004 00F21508
	v_cmp_u_f32_e64 s[60:61], v59, v59                         // 0000000057A4: D048003C 0002773B
	v_add3_u32 v8, v59, v11, 1                                 // 0000000057AC: D1FF0008 0206173B
	v_cndmask_b32_e64 v5, v8, v10, s[60:61]                    // 0000000057B4: D1000005 00F21508
	v_perm_b32 v69, v5, v4, s35                                // 0000000057BC: D1ED0045 008E0905
	ds_write_b64 v28, v[60:61]                                 // 0000000057C4: D89A0000 00003C1C
	ds_write_b64 v28, v[62:63] offset:2176                     // 0000000057CC: D89A0880 00003E1C
	ds_write_b64 v28, v[64:65] offset:4352                     // 0000000057D4: D89A1100 0000401C
	ds_write_b64 v28, v[66:67] offset:6528                     // 0000000057DC: D89A1980 0000421C
	ds_write_b64 v28, v[68:69] offset:8704                     // 0000000057E4: D89A2200 0000441C
	s_waitcnt lgkmcnt(0)                                       // 0000000057EC: BF8CC07F
	s_barrier                                                  // 0000000057F0: BF8A0000
	ds_read_b32 v60, v37                                       // 0000000057F4: D86C0000 3C000025
	ds_read_b32 v61, v37 offset:64                             // 0000000057FC: D86C0040 3D000025
	ds_read_b32 v62, v37 offset:2176                           // 000000005804: D86C0880 3E000025
	ds_read_b32 v63, v37 offset:2240                           // 00000000580C: D86C08C0 3F000025
	ds_read_b32 v64, v37 offset:4352                           // 000000005814: D86C1100 40000025
	ds_read_b32 v65, v37 offset:4416                           // 00000000581C: D86C1140 41000025
	ds_read_b32 v66, v37 offset:6528                           // 000000005824: D86C1980 42000025
	ds_read_b32 v67, v37 offset:6592                           // 00000000582C: D86C19C0 43000025
	ds_read_b32 v68, v37 offset:8704                           // 000000005834: D86C2200 44000025
	ds_read_b32 v69, v37 offset:8768                           // 00000000583C: D86C2240 45000025
	s_waitcnt lgkmcnt(0)                                       // 000000005844: BF8CC07F
	s_cmp_eq_u32 s24, 0                                        // 000000005848: BF068018
	s_cbranch_scc0 label_0B9A                                  // 00000000584C: BF840006
	s_mov_b32 s31, 0                                           // 000000005850: BE9F0080

0000000000005854 <label_0B95>:
	s_load_dword s32, s[40:41], s62 glc                        // 000000005854: C0010814 0000003E
	s_waitcnt lgkmcnt(0)                                       // 00000000585C: BF8CC07F
	s_cmp_gt_u32 s32, s31                                      // 000000005860: BF081F20
	s_cbranch_scc0 label_0B95                                  // 000000005864: BF84FFFB

0000000000005868 <label_0B9A>:
	s_barrier                                                  // 000000005868: BF8A0000
	s_mul_i32 s31, s30, 8                                      // 00000000586C: 921F881E
	v_mov_b32_e32 v4, v17                                      // 000000005870: 7E080311
	global_atomic_pk_add_bf16 v4, v60, s[16:17]                // 000000005874: DD488000 00103C04
	v_add_u32_e64 v4, v4, s31                                  // 00000000587C: D1340004 00003F04
	global_atomic_pk_add_bf16 v4, v61, s[16:17]                // 000000005884: DD488000 00103D04
	v_add_u32_e64 v4, v4, s31                                  // 00000000588C: D1340004 00003F04
	global_atomic_pk_add_bf16 v4, v62, s[16:17]                // 000000005894: DD488000 00103E04
	v_add_u32_e64 v4, v4, s31                                  // 00000000589C: D1340004 00003F04
	global_atomic_pk_add_bf16 v4, v63, s[16:17]                // 0000000058A4: DD488000 00103F04
	v_add_u32_e64 v4, v4, s31                                  // 0000000058AC: D1340004 00003F04
	global_atomic_pk_add_bf16 v4, v64, s[16:17]                // 0000000058B4: DD488000 00104004
	v_add_u32_e64 v4, v4, s31                                  // 0000000058BC: D1340004 00003F04
	global_atomic_pk_add_bf16 v4, v65, s[16:17]                // 0000000058C4: DD488000 00104104
	v_add_u32_e64 v4, v4, s31                                  // 0000000058CC: D1340004 00003F04
	global_atomic_pk_add_bf16 v4, v66, s[16:17]                // 0000000058D4: DD488000 00104204
	v_add_u32_e64 v4, v4, s31                                  // 0000000058DC: D1340004 00003F04
	global_atomic_pk_add_bf16 v4, v67, s[16:17]                // 0000000058E4: DD488000 00104304
	v_add_u32_e64 v4, v4, s31                                  // 0000000058EC: D1340004 00003F04
	global_atomic_pk_add_bf16 v4, v68, s[16:17]                // 0000000058F4: DD488000 00104404
	v_add_u32_e64 v4, v4, s31                                  // 0000000058FC: D1340004 00003F04
	global_atomic_pk_add_bf16 v4, v69, s[16:17]                // 000000005904: DD488000 00104504
	v_add_u32_e64 v4, v4, s31                                  // 00000000590C: D1340004 00003F04
	s_barrier                                                  // 000000005914: BF8A0000
	s_cmp_eq_u32 s24, 0                                        // 000000005918: BF068018
	s_cbranch_scc0 label_0F0D                                  // 00000000591C: BF840345
	s_atomic_dec s52, s[40:41], s62                            // 000000005920: C2300D14 0000003E
	s_branch label_0F0D                                        // 000000005928: BF820342

000000000000592c <label_0BCB>:
	v_mov_b32_e32 v5, 0                                        // 00000000592C: 7E0A0280
	s_and_b32 s17, s17, 0xffff                                 // 000000005930: 8611FF11 0000FFFF
	s_cmp_lt_u32 s54, 1                                        // 000000005938: BF0A8136
	s_cbranch_scc0 label_0CBD                                  // 00000000593C: BF8400ED
	v_lshrrev_b32_e32 v4, 4, v0                                // 000000005940: 20080084
	v_mul_u32_u24_e32 v28, 0x44, v4                            // 000000005944: 103808FF 00000044
	v_and_b32_e32 v4, 15, v0                                   // 00000000594C: 2608008F
	v_mul_lo_u32 v5, 4, v4                                     // 000000005950: D2850005 00020884
	v_add_u32_e32 v28, v5, v28                                 // 000000005958: 68383905
	s_mul_i32 s31, s24, 0x110                                  // 00000000595C: 921FFF18 00000110
	v_add_u32_e32 v28, s31, v28                                // 000000005964: 6838381F
	v_lshlrev_b32_e32 v28, 2, v28                              // 000000005968: 24383882
	v_lshrrev_b32_e32 v4, 2, v0                                // 00000000596C: 20080082
	v_mul_u32_u24_e32 v37, 0x44, v4                            // 000000005970: 104A08FF 00000044
	v_and_b32_e32 v4, 3, v0                                    // 000000005978: 26080083
	v_add_u32_e32 v37, v4, v37                                 // 00000000597C: 684A4B04
	s_mul_i32 s31, s24, 4                                      // 000000005980: 921F8418
	v_add_u32_e32 v37, s31, v37                                // 000000005984: 684A4A1F
	v_lshlrev_b32_e32 v37, 2, v37                              // 000000005988: 244A4A82
	s_lshr_b32 s31, s55, 2                                     // 00000000598C: 8F1F8237
	s_and_b32 s32, s55, 3                                      // 000000005990: 86208337
	s_cmp_lt_u32 s24, s32                                      // 000000005994: BF0A2018
	s_cselect_b32 s32, 1, 0                                    // 000000005998: 85208081
	s_add_u32 s55, s31, s32                                    // 00000000599C: 8037201F
	s_mov_b32 s33, 0                                           // 0000000059A0: BEA10080
	s_waitcnt vmcnt(0) expcnt(0) lgkmcnt(0)                    // 0000000059A4: BF8C0000
	s_barrier                                                  // 0000000059A8: BF8A0000
	ds_write_b128 v28, v[40:43]                                // 0000000059AC: D9BE0000 0000281C
	ds_write_b128 v28, v[44:47] offset:4352                    // 0000000059B4: D9BE1100 00002C1C
	ds_write_b128 v28, v[48:51] offset:8704                    // 0000000059BC: D9BE2200 0000301C
	ds_write_b128 v28, v[52:55] offset:13056                   // 0000000059C4: D9BE3300 0000341C
	ds_write_b128 v28, v[56:59] offset:17408                   // 0000000059CC: D9BE4400 0000381C
	s_waitcnt lgkmcnt(0)                                       // 0000000059D4: BF8CC07F
	s_barrier                                                  // 0000000059D8: BF8A0000
	ds_read_b32 v40, v37                                       // 0000000059DC: D86C0000 28000025
	ds_read_b32 v41, v37 offset:64                             // 0000000059E4: D86C0040 29000025
	ds_read_b32 v42, v37 offset:128                            // 0000000059EC: D86C0080 2A000025
	ds_read_b32 v43, v37 offset:192                            // 0000000059F4: D86C00C0 2B000025
	ds_read_b32 v44, v37 offset:4352                           // 0000000059FC: D86C1100 2C000025
	ds_read_b32 v45, v37 offset:4416                           // 000000005A04: D86C1140 2D000025
	ds_read_b32 v46, v37 offset:4480                           // 000000005A0C: D86C1180 2E000025
	ds_read_b32 v47, v37 offset:4544                           // 000000005A14: D86C11C0 2F000025
	ds_read_b32 v48, v37 offset:8704                           // 000000005A1C: D86C2200 30000025
	ds_read_b32 v49, v37 offset:8768                           // 000000005A24: D86C2240 31000025
	ds_read_b32 v50, v37 offset:8832                           // 000000005A2C: D86C2280 32000025
	ds_read_b32 v51, v37 offset:8896                           // 000000005A34: D86C22C0 33000025
	ds_read_b32 v52, v37 offset:13056                          // 000000005A3C: D86C3300 34000025
	ds_read_b32 v53, v37 offset:13120                          // 000000005A44: D86C3340 35000025
	ds_read_b32 v54, v37 offset:13184                          // 000000005A4C: D86C3380 36000025
	ds_read_b32 v55, v37 offset:13248                          // 000000005A54: D86C33C0 37000025
	ds_read_b32 v56, v37 offset:17408                          // 000000005A5C: D86C4400 38000025
	ds_read_b32 v57, v37 offset:17472                          // 000000005A64: D86C4440 39000025
	ds_read_b32 v58, v37 offset:17536                          // 000000005A6C: D86C4480 3A000025
	ds_read_b32 v59, v37 offset:17600                          // 000000005A74: D86C44C0 3B000025
	s_waitcnt lgkmcnt(0)                                       // 000000005A7C: BF8CC07F
	s_cmp_eq_u32 s24, 0                                        // 000000005A80: BF068018
	s_cbranch_scc0 label_0C28                                  // 000000005A84: BF840006
	s_mov_b32 s31, 0                                           // 000000005A88: BE9F0080

0000000000005a8c <label_0C23>:
	s_load_dword s32, s[40:41], s62 glc                        // 000000005A8C: C0010814 0000003E
	s_waitcnt lgkmcnt(0)                                       // 000000005A94: BF8CC07F
	s_cmp_gt_u32 s32, s31                                      // 000000005A98: BF081F20
	s_cbranch_scc0 label_0C23                                  // 000000005A9C: BF84FFFB

0000000000005aa0 <label_0C28>:
	s_barrier                                                  // 000000005AA0: BF8A0000
	s_mul_i32 s31, s30, 4                                      // 000000005AA4: 921F841E
	v_mov_b32_e32 v4, v17                                      // 000000005AA8: 7E080311
	s_cmp_lt_i32 s33, s55                                      // 000000005AAC: BF043721
	s_cbranch_scc0 label_0CB7                                  // 000000005AB0: BF84008A
	global_atomic_add_f32 v4, v40, s[16:17]                    // 000000005AB4: DD348000 00102804
	v_add_u32_e64 v4, v4, s31                                  // 000000005ABC: D1340004 00003F04
	s_addk_i32 s33, 0x1                                        // 000000005AC4: B7210001
	s_cmp_lt_i32 s33, s55                                      // 000000005AC8: BF043721
	s_cbranch_scc0 label_0CB7                                  // 000000005ACC: BF840083
	global_atomic_add_f32 v4, v41, s[16:17]                    // 000000005AD0: DD348000 00102904
	v_add_u32_e64 v4, v4, s31                                  // 000000005AD8: D1340004 00003F04
	s_addk_i32 s33, 0x1                                        // 000000005AE0: B7210001
	s_cmp_lt_i32 s33, s55                                      // 000000005AE4: BF043721
	s_cbranch_scc0 label_0CB7                                  // 000000005AE8: BF84007C
	global_atomic_add_f32 v4, v42, s[16:17]                    // 000000005AEC: DD348000 00102A04
	v_add_u32_e64 v4, v4, s31                                  // 000000005AF4: D1340004 00003F04
	s_addk_i32 s33, 0x1                                        // 000000005AFC: B7210001
	s_cmp_lt_i32 s33, s55                                      // 000000005B00: BF043721
	s_cbranch_scc0 label_0CB7                                  // 000000005B04: BF840075
	global_atomic_add_f32 v4, v43, s[16:17]                    // 000000005B08: DD348000 00102B04
	v_add_u32_e64 v4, v4, s31                                  // 000000005B10: D1340004 00003F04
	s_addk_i32 s33, 0x1                                        // 000000005B18: B7210001
	s_cmp_lt_i32 s33, s55                                      // 000000005B1C: BF043721
	s_cbranch_scc0 label_0CB7                                  // 000000005B20: BF84006E
	global_atomic_add_f32 v4, v44, s[16:17]                    // 000000005B24: DD348000 00102C04
	v_add_u32_e64 v4, v4, s31                                  // 000000005B2C: D1340004 00003F04
	s_addk_i32 s33, 0x1                                        // 000000005B34: B7210001
	s_cmp_lt_i32 s33, s55                                      // 000000005B38: BF043721
	s_cbranch_scc0 label_0CB7                                  // 000000005B3C: BF840067
	global_atomic_add_f32 v4, v45, s[16:17]                    // 000000005B40: DD348000 00102D04
	v_add_u32_e64 v4, v4, s31                                  // 000000005B48: D1340004 00003F04
	s_addk_i32 s33, 0x1                                        // 000000005B50: B7210001
	s_cmp_lt_i32 s33, s55                                      // 000000005B54: BF043721
	s_cbranch_scc0 label_0CB7                                  // 000000005B58: BF840060
	global_atomic_add_f32 v4, v46, s[16:17]                    // 000000005B5C: DD348000 00102E04
	v_add_u32_e64 v4, v4, s31                                  // 000000005B64: D1340004 00003F04
	s_addk_i32 s33, 0x1                                        // 000000005B6C: B7210001
	s_cmp_lt_i32 s33, s55                                      // 000000005B70: BF043721
	s_cbranch_scc0 label_0CB7                                  // 000000005B74: BF840059
	global_atomic_add_f32 v4, v47, s[16:17]                    // 000000005B78: DD348000 00102F04
	v_add_u32_e64 v4, v4, s31                                  // 000000005B80: D1340004 00003F04
	s_addk_i32 s33, 0x1                                        // 000000005B88: B7210001
	s_cmp_lt_i32 s33, s55                                      // 000000005B8C: BF043721
	s_cbranch_scc0 label_0CB7                                  // 000000005B90: BF840052
	global_atomic_add_f32 v4, v48, s[16:17]                    // 000000005B94: DD348000 00103004
	v_add_u32_e64 v4, v4, s31                                  // 000000005B9C: D1340004 00003F04
	s_addk_i32 s33, 0x1                                        // 000000005BA4: B7210001
	s_cmp_lt_i32 s33, s55                                      // 000000005BA8: BF043721
	s_cbranch_scc0 label_0CB7                                  // 000000005BAC: BF84004B
	global_atomic_add_f32 v4, v49, s[16:17]                    // 000000005BB0: DD348000 00103104
	v_add_u32_e64 v4, v4, s31                                  // 000000005BB8: D1340004 00003F04
	s_addk_i32 s33, 0x1                                        // 000000005BC0: B7210001
	s_cmp_lt_i32 s33, s55                                      // 000000005BC4: BF043721
	s_cbranch_scc0 label_0CB7                                  // 000000005BC8: BF840044
	global_atomic_add_f32 v4, v50, s[16:17]                    // 000000005BCC: DD348000 00103204
	v_add_u32_e64 v4, v4, s31                                  // 000000005BD4: D1340004 00003F04
	s_addk_i32 s33, 0x1                                        // 000000005BDC: B7210001
	s_cmp_lt_i32 s33, s55                                      // 000000005BE0: BF043721
	s_cbranch_scc0 label_0CB7                                  // 000000005BE4: BF84003D
	global_atomic_add_f32 v4, v51, s[16:17]                    // 000000005BE8: DD348000 00103304
	v_add_u32_e64 v4, v4, s31                                  // 000000005BF0: D1340004 00003F04
	s_addk_i32 s33, 0x1                                        // 000000005BF8: B7210001
	s_cmp_lt_i32 s33, s55                                      // 000000005BFC: BF043721
	s_cbranch_scc0 label_0CB7                                  // 000000005C00: BF840036
	global_atomic_add_f32 v4, v52, s[16:17]                    // 000000005C04: DD348000 00103404
	v_add_u32_e64 v4, v4, s31                                  // 000000005C0C: D1340004 00003F04
	s_addk_i32 s33, 0x1                                        // 000000005C14: B7210001
	s_cmp_lt_i32 s33, s55                                      // 000000005C18: BF043721
	s_cbranch_scc0 label_0CB7                                  // 000000005C1C: BF84002F
	global_atomic_add_f32 v4, v53, s[16:17]                    // 000000005C20: DD348000 00103504
	v_add_u32_e64 v4, v4, s31                                  // 000000005C28: D1340004 00003F04
	s_addk_i32 s33, 0x1                                        // 000000005C30: B7210001
	s_cmp_lt_i32 s33, s55                                      // 000000005C34: BF043721
	s_cbranch_scc0 label_0CB7                                  // 000000005C38: BF840028
	global_atomic_add_f32 v4, v54, s[16:17]                    // 000000005C3C: DD348000 00103604
	v_add_u32_e64 v4, v4, s31                                  // 000000005C44: D1340004 00003F04
	s_addk_i32 s33, 0x1                                        // 000000005C4C: B7210001
	s_cmp_lt_i32 s33, s55                                      // 000000005C50: BF043721
	s_cbranch_scc0 label_0CB7                                  // 000000005C54: BF840021
	global_atomic_add_f32 v4, v55, s[16:17]                    // 000000005C58: DD348000 00103704
	v_add_u32_e64 v4, v4, s31                                  // 000000005C60: D1340004 00003F04
	s_addk_i32 s33, 0x1                                        // 000000005C68: B7210001
	s_cmp_lt_i32 s33, s55                                      // 000000005C6C: BF043721
	s_cbranch_scc0 label_0CB7                                  // 000000005C70: BF84001A
	global_atomic_add_f32 v4, v56, s[16:17]                    // 000000005C74: DD348000 00103804
	v_add_u32_e64 v4, v4, s31                                  // 000000005C7C: D1340004 00003F04
	s_addk_i32 s33, 0x1                                        // 000000005C84: B7210001
	s_cmp_lt_i32 s33, s55                                      // 000000005C88: BF043721
	s_cbranch_scc0 label_0CB7                                  // 000000005C8C: BF840013
	global_atomic_add_f32 v4, v57, s[16:17]                    // 000000005C90: DD348000 00103904
	v_add_u32_e64 v4, v4, s31                                  // 000000005C98: D1340004 00003F04
	s_addk_i32 s33, 0x1                                        // 000000005CA0: B7210001
	s_cmp_lt_i32 s33, s55                                      // 000000005CA4: BF043721
	s_cbranch_scc0 label_0CB7                                  // 000000005CA8: BF84000C
	global_atomic_add_f32 v4, v58, s[16:17]                    // 000000005CAC: DD348000 00103A04
	v_add_u32_e64 v4, v4, s31                                  // 000000005CB4: D1340004 00003F04
	s_addk_i32 s33, 0x1                                        // 000000005CBC: B7210001
	s_cmp_lt_i32 s33, s55                                      // 000000005CC0: BF043721
	s_cbranch_scc0 label_0CB7                                  // 000000005CC4: BF840005
	global_atomic_add_f32 v4, v59, s[16:17]                    // 000000005CC8: DD348000 00103B04
	v_add_u32_e64 v4, v4, s31                                  // 000000005CD0: D1340004 00003F04
	s_addk_i32 s33, 0x1                                        // 000000005CD8: B7210001

0000000000005cdc <label_0CB7>:
	s_barrier                                                  // 000000005CDC: BF8A0000
	s_cmp_eq_u32 s24, 0                                        // 000000005CE0: BF068018
	s_cbranch_scc0 label_0F0D                                  // 000000005CE4: BF840253
	s_atomic_dec s52, s[40:41], s62                            // 000000005CE8: C2300D14 0000003E
	s_branch label_0F0D                                        // 000000005CF0: BF820250

0000000000005cf4 <label_0CBD>:
	v_lshrrev_b32_e32 v4, 4, v0                                // 000000005CF4: 20080084
	v_mul_u32_u24_e32 v28, 34, v4                              // 000000005CF8: 103808A2
	v_and_b32_e32 v4, 15, v0                                   // 000000005CFC: 2608008F
	v_mul_lo_u32 v5, 2, v4                                     // 000000005D00: D2850005 00020882
	v_add_u32_e32 v28, v5, v28                                 // 000000005D08: 68383905
	s_mul_i32 s31, s24, 0x88                                   // 000000005D0C: 921FFF18 00000088
	v_add_u32_e32 v28, s31, v28                                // 000000005D14: 6838381F
	v_lshlrev_b32_e32 v28, 2, v28                              // 000000005D18: 24383882
	v_and_b32_e32 v4, 31, v0                                   // 000000005D1C: 2608009F
	v_lshrrev_b32_e32 v5, 1, v4                                // 000000005D20: 200A0881
	v_mul_u32_u24_e32 v37, 34, v5                              // 000000005D24: 104A0AA2
	v_and_b32_e32 v5, 1, v4                                    // 000000005D28: 260A0881
	v_add_u32_e32 v37, v5, v37                                 // 000000005D2C: 684A4B05
	v_lshrrev_b32_e32 v4, 5, v0                                // 000000005D30: 20080085
	v_mul_u32_u24_e32 v4, 8, v4                                // 000000005D34: 10080888
	v_add_u32_e32 v37, v4, v37                                 // 000000005D38: 684A4B04
	s_mul_i32 s31, s24, 2                                      // 000000005D3C: 921F8218
	v_add_u32_e32 v37, s31, v37                                // 000000005D40: 684A4A1F
	v_lshlrev_b32_e32 v37, 2, v37                              // 000000005D44: 244A4A82
	s_lshr_b32 s31, s55, 2                                     // 000000005D48: 8F1F8237
	s_and_b32 s32, s55, 3                                      // 000000005D4C: 86208337
	s_cmp_lt_u32 s24, s32                                      // 000000005D50: BF0A2018
	s_cselect_b32 s32, 1, 0                                    // 000000005D54: 85208081
	s_add_u32 s55, s31, s32                                    // 000000005D58: 8037201F
	s_mov_b32 s33, 0                                           // 000000005D5C: BEA10080
	s_waitcnt vmcnt(0) expcnt(0) lgkmcnt(0)                    // 000000005D60: BF8C0000
	s_barrier                                                  // 000000005D64: BF8A0000
	v_cmp_u_f32_e64 s[60:61], v40, v40                         // 000000005D68: D048003C 00025128
	v_add3_u32 v8, v40, v11, 1                                 // 000000005D70: D1FF0008 02061728
	v_cndmask_b32_e64 v4, v8, v10, s[60:61]                    // 000000005D78: D1000004 00F21508
	v_cmp_u_f32_e64 s[60:61], v41, v41                         // 000000005D80: D048003C 00025329
	v_add3_u32 v8, v41, v11, 1                                 // 000000005D88: D1FF0008 02061729
	v_cndmask_b32_e64 v5, v8, v10, s[60:61]                    // 000000005D90: D1000005 00F21508
	v_perm_b32 v60, v5, v4, s35                                // 000000005D98: D1ED003C 008E0905
	v_cmp_u_f32_e64 s[60:61], v42, v42                         // 000000005DA0: D048003C 0002552A
	v_add3_u32 v8, v42, v11, 1                                 // 000000005DA8: D1FF0008 0206172A
	v_cndmask_b32_e64 v4, v8, v10, s[60:61]                    // 000000005DB0: D1000004 00F21508
	v_cmp_u_f32_e64 s[60:61], v43, v43                         // 000000005DB8: D048003C 0002572B
	v_add3_u32 v8, v43, v11, 1                                 // 000000005DC0: D1FF0008 0206172B
	v_cndmask_b32_e64 v5, v8, v10, s[60:61]                    // 000000005DC8: D1000005 00F21508
	v_perm_b32 v61, v5, v4, s35                                // 000000005DD0: D1ED003D 008E0905
	v_cmp_u_f32_e64 s[60:61], v44, v44                         // 000000005DD8: D048003C 0002592C
	v_add3_u32 v8, v44, v11, 1                                 // 000000005DE0: D1FF0008 0206172C
	v_cndmask_b32_e64 v4, v8, v10, s[60:61]                    // 000000005DE8: D1000004 00F21508
	v_cmp_u_f32_e64 s[60:61], v45, v45                         // 000000005DF0: D048003C 00025B2D
	v_add3_u32 v8, v45, v11, 1                                 // 000000005DF8: D1FF0008 0206172D
	v_cndmask_b32_e64 v5, v8, v10, s[60:61]                    // 000000005E00: D1000005 00F21508
	v_perm_b32 v62, v5, v4, s35                                // 000000005E08: D1ED003E 008E0905
	v_cmp_u_f32_e64 s[60:61], v46, v46                         // 000000005E10: D048003C 00025D2E
	v_add3_u32 v8, v46, v11, 1                                 // 000000005E18: D1FF0008 0206172E
	v_cndmask_b32_e64 v4, v8, v10, s[60:61]                    // 000000005E20: D1000004 00F21508
	v_cmp_u_f32_e64 s[60:61], v47, v47                         // 000000005E28: D048003C 00025F2F
	v_add3_u32 v8, v47, v11, 1                                 // 000000005E30: D1FF0008 0206172F
	v_cndmask_b32_e64 v5, v8, v10, s[60:61]                    // 000000005E38: D1000005 00F21508
	v_perm_b32 v63, v5, v4, s35                                // 000000005E40: D1ED003F 008E0905
	v_cmp_u_f32_e64 s[60:61], v48, v48                         // 000000005E48: D048003C 00026130
	v_add3_u32 v8, v48, v11, 1                                 // 000000005E50: D1FF0008 02061730
	v_cndmask_b32_e64 v4, v8, v10, s[60:61]                    // 000000005E58: D1000004 00F21508
	v_cmp_u_f32_e64 s[60:61], v49, v49                         // 000000005E60: D048003C 00026331
	v_add3_u32 v8, v49, v11, 1                                 // 000000005E68: D1FF0008 02061731
	v_cndmask_b32_e64 v5, v8, v10, s[60:61]                    // 000000005E70: D1000005 00F21508
	v_perm_b32 v64, v5, v4, s35                                // 000000005E78: D1ED0040 008E0905
	v_cmp_u_f32_e64 s[60:61], v50, v50                         // 000000005E80: D048003C 00026532
	v_add3_u32 v8, v50, v11, 1                                 // 000000005E88: D1FF0008 02061732
	v_cndmask_b32_e64 v4, v8, v10, s[60:61]                    // 000000005E90: D1000004 00F21508
	v_cmp_u_f32_e64 s[60:61], v51, v51                         // 000000005E98: D048003C 00026733
	v_add3_u32 v8, v51, v11, 1                                 // 000000005EA0: D1FF0008 02061733
	v_cndmask_b32_e64 v5, v8, v10, s[60:61]                    // 000000005EA8: D1000005 00F21508
	v_perm_b32 v65, v5, v4, s35                                // 000000005EB0: D1ED0041 008E0905
	v_cmp_u_f32_e64 s[60:61], v52, v52                         // 000000005EB8: D048003C 00026934
	v_add3_u32 v8, v52, v11, 1                                 // 000000005EC0: D1FF0008 02061734
	v_cndmask_b32_e64 v4, v8, v10, s[60:61]                    // 000000005EC8: D1000004 00F21508
	v_cmp_u_f32_e64 s[60:61], v53, v53                         // 000000005ED0: D048003C 00026B35
	v_add3_u32 v8, v53, v11, 1                                 // 000000005ED8: D1FF0008 02061735
	v_cndmask_b32_e64 v5, v8, v10, s[60:61]                    // 000000005EE0: D1000005 00F21508
	v_perm_b32 v66, v5, v4, s35                                // 000000005EE8: D1ED0042 008E0905
	v_cmp_u_f32_e64 s[60:61], v54, v54                         // 000000005EF0: D048003C 00026D36
	v_add3_u32 v8, v54, v11, 1                                 // 000000005EF8: D1FF0008 02061736
	v_cndmask_b32_e64 v4, v8, v10, s[60:61]                    // 000000005F00: D1000004 00F21508
	v_cmp_u_f32_e64 s[60:61], v55, v55                         // 000000005F08: D048003C 00026F37
	v_add3_u32 v8, v55, v11, 1                                 // 000000005F10: D1FF0008 02061737
	v_cndmask_b32_e64 v5, v8, v10, s[60:61]                    // 000000005F18: D1000005 00F21508
	v_perm_b32 v67, v5, v4, s35                                // 000000005F20: D1ED0043 008E0905
	v_cmp_u_f32_e64 s[60:61], v56, v56                         // 000000005F28: D048003C 00027138
	v_add3_u32 v8, v56, v11, 1                                 // 000000005F30: D1FF0008 02061738
	v_cndmask_b32_e64 v4, v8, v10, s[60:61]                    // 000000005F38: D1000004 00F21508
	v_cmp_u_f32_e64 s[60:61], v57, v57                         // 000000005F40: D048003C 00027339
	v_add3_u32 v8, v57, v11, 1                                 // 000000005F48: D1FF0008 02061739
	v_cndmask_b32_e64 v5, v8, v10, s[60:61]                    // 000000005F50: D1000005 00F21508
	v_perm_b32 v68, v5, v4, s35                                // 000000005F58: D1ED0044 008E0905
	v_cmp_u_f32_e64 s[60:61], v58, v58                         // 000000005F60: D048003C 0002753A
	v_add3_u32 v8, v58, v11, 1                                 // 000000005F68: D1FF0008 0206173A
	v_cndmask_b32_e64 v4, v8, v10, s[60:61]                    // 000000005F70: D1000004 00F21508
	v_cmp_u_f32_e64 s[60:61], v59, v59                         // 000000005F78: D048003C 0002773B
	v_add3_u32 v8, v59, v11, 1                                 // 000000005F80: D1FF0008 0206173B
	v_cndmask_b32_e64 v5, v8, v10, s[60:61]                    // 000000005F88: D1000005 00F21508
	v_perm_b32 v69, v5, v4, s35                                // 000000005F90: D1ED0045 008E0905
	ds_write_b64 v28, v[60:61]                                 // 000000005F98: D89A0000 00003C1C
	ds_write_b64 v28, v[62:63] offset:2176                     // 000000005FA0: D89A0880 00003E1C
	ds_write_b64 v28, v[64:65] offset:4352                     // 000000005FA8: D89A1100 0000401C
	ds_write_b64 v28, v[66:67] offset:6528                     // 000000005FB0: D89A1980 0000421C
	ds_write_b64 v28, v[68:69] offset:8704                     // 000000005FB8: D89A2200 0000441C
	s_waitcnt lgkmcnt(0)                                       // 000000005FC0: BF8CC07F
	s_barrier                                                  // 000000005FC4: BF8A0000
	ds_read_b32 v60, v37                                       // 000000005FC8: D86C0000 3C000025
	ds_read_b32 v61, v37 offset:64                             // 000000005FD0: D86C0040 3D000025
	ds_read_b32 v62, v37 offset:2176                           // 000000005FD8: D86C0880 3E000025
	ds_read_b32 v63, v37 offset:2240                           // 000000005FE0: D86C08C0 3F000025
	ds_read_b32 v64, v37 offset:4352                           // 000000005FE8: D86C1100 40000025
	ds_read_b32 v65, v37 offset:4416                           // 000000005FF0: D86C1140 41000025
	ds_read_b32 v66, v37 offset:6528                           // 000000005FF8: D86C1980 42000025
	ds_read_b32 v67, v37 offset:6592                           // 000000006000: D86C19C0 43000025
	ds_read_b32 v68, v37 offset:8704                           // 000000006008: D86C2200 44000025
	ds_read_b32 v69, v37 offset:8768                           // 000000006010: D86C2240 45000025
	s_waitcnt lgkmcnt(0)                                       // 000000006018: BF8CC07F
	s_cmp_eq_u32 s24, 0                                        // 00000000601C: BF068018
	s_cbranch_scc0 label_0D8F                                  // 000000006020: BF840006
	s_mov_b32 s31, 0                                           // 000000006024: BE9F0080

0000000000006028 <label_0D8A>:
	s_load_dword s32, s[40:41], s62 glc                        // 000000006028: C0010814 0000003E
	s_waitcnt lgkmcnt(0)                                       // 000000006030: BF8CC07F
	s_cmp_gt_u32 s32, s31                                      // 000000006034: BF081F20
	s_cbranch_scc0 label_0D8A                                  // 000000006038: BF84FFFB

000000000000603c <label_0D8F>:
	s_barrier                                                  // 00000000603C: BF8A0000
	s_mul_i32 s31, s30, 8                                      // 000000006040: 921F881E
	v_mov_b32_e32 v4, v17                                      // 000000006044: 7E080311
	s_cmp_lt_i32 s33, s55                                      // 000000006048: BF043721
	s_cbranch_scc0 label_0E64                                  // 00000000604C: BF8400D0
	s_mov_b32 s58, -1                                          // 000000006050: BEBA00C1
	s_mov_b32 s59, 0                                           // 000000006054: BEBB0080
	s_mov_b64 exec, s[58:59]                                   // 000000006058: BEFE013A
	global_atomic_pk_add_bf16 v4, v60, s[16:17]                // 00000000605C: DD488000 00103C04
	s_addk_i32 s33, 0x1                                        // 000000006064: B7210001
	s_cmp_lt_i32 s33, s55                                      // 000000006068: BF043721
	s_cbranch_scc0 label_0E64                                  // 00000000606C: BF8400C8
	s_mov_b32 s58, 0                                           // 000000006070: BEBA0080
	s_mov_b32 s59, -1                                          // 000000006074: BEBB00C1
	s_mov_b64 exec, s[58:59]                                   // 000000006078: BEFE013A
	global_atomic_pk_add_bf16 v4, v60, s[16:17]                // 00000000607C: DD488000 00103C04
	s_addk_i32 s33, 0x1                                        // 000000006084: B7210001
	s_mov_b32 s58, -1                                          // 000000006088: BEBA00C1
	s_mov_b32 s59, -1                                          // 00000000608C: BEBB00C1
	s_mov_b64 exec, s[58:59]                                   // 000000006090: BEFE013A
	v_add_u32_e64 v4, v4, s31                                  // 000000006094: D1340004 00003F04
	s_cmp_lt_i32 s33, s55                                      // 00000000609C: BF043721
	s_cbranch_scc0 label_0E64                                  // 0000000060A0: BF8400BB
	s_mov_b32 s58, -1                                          // 0000000060A4: BEBA00C1
	s_mov_b32 s59, 0                                           // 0000000060A8: BEBB0080
	s_mov_b64 exec, s[58:59]                                   // 0000000060AC: BEFE013A
	global_atomic_pk_add_bf16 v4, v61, s[16:17]                // 0000000060B0: DD488000 00103D04
	s_addk_i32 s33, 0x1                                        // 0000000060B8: B7210001
	s_cmp_lt_i32 s33, s55                                      // 0000000060BC: BF043721
	s_cbranch_scc0 label_0E64                                  // 0000000060C0: BF8400B3
	s_mov_b32 s58, 0                                           // 0000000060C4: BEBA0080
	s_mov_b32 s59, -1                                          // 0000000060C8: BEBB00C1
	s_mov_b64 exec, s[58:59]                                   // 0000000060CC: BEFE013A
	global_atomic_pk_add_bf16 v4, v61, s[16:17]                // 0000000060D0: DD488000 00103D04
	s_addk_i32 s33, 0x1                                        // 0000000060D8: B7210001
	s_mov_b32 s58, -1                                          // 0000000060DC: BEBA00C1
	s_mov_b32 s59, -1                                          // 0000000060E0: BEBB00C1
	s_mov_b64 exec, s[58:59]                                   // 0000000060E4: BEFE013A
	v_add_u32_e64 v4, v4, s31                                  // 0000000060E8: D1340004 00003F04
	s_cmp_lt_i32 s33, s55                                      // 0000000060F0: BF043721
	s_cbranch_scc0 label_0E64                                  // 0000000060F4: BF8400A6
	s_mov_b32 s58, -1                                          // 0000000060F8: BEBA00C1
	s_mov_b32 s59, 0                                           // 0000000060FC: BEBB0080
	s_mov_b64 exec, s[58:59]                                   // 000000006100: BEFE013A
	global_atomic_pk_add_bf16 v4, v62, s[16:17]                // 000000006104: DD488000 00103E04
	s_addk_i32 s33, 0x1                                        // 00000000610C: B7210001
	s_cmp_lt_i32 s33, s55                                      // 000000006110: BF043721
	s_cbranch_scc0 label_0E64                                  // 000000006114: BF84009E
	s_mov_b32 s58, 0                                           // 000000006118: BEBA0080
	s_mov_b32 s59, -1                                          // 00000000611C: BEBB00C1
	s_mov_b64 exec, s[58:59]                                   // 000000006120: BEFE013A
	global_atomic_pk_add_bf16 v4, v62, s[16:17]                // 000000006124: DD488000 00103E04
	s_addk_i32 s33, 0x1                                        // 00000000612C: B7210001
	s_mov_b32 s58, -1                                          // 000000006130: BEBA00C1
	s_mov_b32 s59, -1                                          // 000000006134: BEBB00C1
	s_mov_b64 exec, s[58:59]                                   // 000000006138: BEFE013A
	v_add_u32_e64 v4, v4, s31                                  // 00000000613C: D1340004 00003F04
	s_cmp_lt_i32 s33, s55                                      // 000000006144: BF043721
	s_cbranch_scc0 label_0E64                                  // 000000006148: BF840091
	s_mov_b32 s58, -1                                          // 00000000614C: BEBA00C1
	s_mov_b32 s59, 0                                           // 000000006150: BEBB0080
	s_mov_b64 exec, s[58:59]                                   // 000000006154: BEFE013A
	global_atomic_pk_add_bf16 v4, v63, s[16:17]                // 000000006158: DD488000 00103F04
	s_addk_i32 s33, 0x1                                        // 000000006160: B7210001
	s_cmp_lt_i32 s33, s55                                      // 000000006164: BF043721
	s_cbranch_scc0 label_0E64                                  // 000000006168: BF840089
	s_mov_b32 s58, 0                                           // 00000000616C: BEBA0080
	s_mov_b32 s59, -1                                          // 000000006170: BEBB00C1
	s_mov_b64 exec, s[58:59]                                   // 000000006174: BEFE013A
	global_atomic_pk_add_bf16 v4, v63, s[16:17]                // 000000006178: DD488000 00103F04
	s_addk_i32 s33, 0x1                                        // 000000006180: B7210001
	s_mov_b32 s58, -1                                          // 000000006184: BEBA00C1
	s_mov_b32 s59, -1                                          // 000000006188: BEBB00C1
	s_mov_b64 exec, s[58:59]                                   // 00000000618C: BEFE013A
	v_add_u32_e64 v4, v4, s31                                  // 000000006190: D1340004 00003F04
	s_cmp_lt_i32 s33, s55                                      // 000000006198: BF043721
	s_cbranch_scc0 label_0E64                                  // 00000000619C: BF84007C
	s_mov_b32 s58, -1                                          // 0000000061A0: BEBA00C1
	s_mov_b32 s59, 0                                           // 0000000061A4: BEBB0080
	s_mov_b64 exec, s[58:59]                                   // 0000000061A8: BEFE013A
	global_atomic_pk_add_bf16 v4, v64, s[16:17]                // 0000000061AC: DD488000 00104004
	s_addk_i32 s33, 0x1                                        // 0000000061B4: B7210001
	s_cmp_lt_i32 s33, s55                                      // 0000000061B8: BF043721
	s_cbranch_scc0 label_0E64                                  // 0000000061BC: BF840074
	s_mov_b32 s58, 0                                           // 0000000061C0: BEBA0080
	s_mov_b32 s59, -1                                          // 0000000061C4: BEBB00C1
	s_mov_b64 exec, s[58:59]                                   // 0000000061C8: BEFE013A
	global_atomic_pk_add_bf16 v4, v64, s[16:17]                // 0000000061CC: DD488000 00104004
	s_addk_i32 s33, 0x1                                        // 0000000061D4: B7210001
	s_mov_b32 s58, -1                                          // 0000000061D8: BEBA00C1
	s_mov_b32 s59, -1                                          // 0000000061DC: BEBB00C1
	s_mov_b64 exec, s[58:59]                                   // 0000000061E0: BEFE013A
	v_add_u32_e64 v4, v4, s31                                  // 0000000061E4: D1340004 00003F04
	s_cmp_lt_i32 s33, s55                                      // 0000000061EC: BF043721
	s_cbranch_scc0 label_0E64                                  // 0000000061F0: BF840067
	s_mov_b32 s58, -1                                          // 0000000061F4: BEBA00C1
	s_mov_b32 s59, 0                                           // 0000000061F8: BEBB0080
	s_mov_b64 exec, s[58:59]                                   // 0000000061FC: BEFE013A
	global_atomic_pk_add_bf16 v4, v65, s[16:17]                // 000000006200: DD488000 00104104
	s_addk_i32 s33, 0x1                                        // 000000006208: B7210001
	s_cmp_lt_i32 s33, s55                                      // 00000000620C: BF043721
	s_cbranch_scc0 label_0E64                                  // 000000006210: BF84005F
	s_mov_b32 s58, 0                                           // 000000006214: BEBA0080
	s_mov_b32 s59, -1                                          // 000000006218: BEBB00C1
	s_mov_b64 exec, s[58:59]                                   // 00000000621C: BEFE013A
	global_atomic_pk_add_bf16 v4, v65, s[16:17]                // 000000006220: DD488000 00104104
	s_addk_i32 s33, 0x1                                        // 000000006228: B7210001
	s_mov_b32 s58, -1                                          // 00000000622C: BEBA00C1
	s_mov_b32 s59, -1                                          // 000000006230: BEBB00C1
	s_mov_b64 exec, s[58:59]                                   // 000000006234: BEFE013A
	v_add_u32_e64 v4, v4, s31                                  // 000000006238: D1340004 00003F04
	s_cmp_lt_i32 s33, s55                                      // 000000006240: BF043721
	s_cbranch_scc0 label_0E64                                  // 000000006244: BF840052
	s_mov_b32 s58, -1                                          // 000000006248: BEBA00C1
	s_mov_b32 s59, 0                                           // 00000000624C: BEBB0080
	s_mov_b64 exec, s[58:59]                                   // 000000006250: BEFE013A
	global_atomic_pk_add_bf16 v4, v66, s[16:17]                // 000000006254: DD488000 00104204
	s_addk_i32 s33, 0x1                                        // 00000000625C: B7210001
	s_cmp_lt_i32 s33, s55                                      // 000000006260: BF043721
	s_cbranch_scc0 label_0E64                                  // 000000006264: BF84004A
	s_mov_b32 s58, 0                                           // 000000006268: BEBA0080
	s_mov_b32 s59, -1                                          // 00000000626C: BEBB00C1
	s_mov_b64 exec, s[58:59]                                   // 000000006270: BEFE013A
	global_atomic_pk_add_bf16 v4, v66, s[16:17]                // 000000006274: DD488000 00104204
	s_addk_i32 s33, 0x1                                        // 00000000627C: B7210001
	s_mov_b32 s58, -1                                          // 000000006280: BEBA00C1
	s_mov_b32 s59, -1                                          // 000000006284: BEBB00C1
	s_mov_b64 exec, s[58:59]                                   // 000000006288: BEFE013A
	v_add_u32_e64 v4, v4, s31                                  // 00000000628C: D1340004 00003F04
	s_cmp_lt_i32 s33, s55                                      // 000000006294: BF043721
	s_cbranch_scc0 label_0E64                                  // 000000006298: BF84003D
	s_mov_b32 s58, -1                                          // 00000000629C: BEBA00C1
	s_mov_b32 s59, 0                                           // 0000000062A0: BEBB0080
	s_mov_b64 exec, s[58:59]                                   // 0000000062A4: BEFE013A
	global_atomic_pk_add_bf16 v4, v67, s[16:17]                // 0000000062A8: DD488000 00104304
	s_addk_i32 s33, 0x1                                        // 0000000062B0: B7210001
	s_cmp_lt_i32 s33, s55                                      // 0000000062B4: BF043721
	s_cbranch_scc0 label_0E64                                  // 0000000062B8: BF840035
	s_mov_b32 s58, 0                                           // 0000000062BC: BEBA0080
	s_mov_b32 s59, -1                                          // 0000000062C0: BEBB00C1
	s_mov_b64 exec, s[58:59]                                   // 0000000062C4: BEFE013A
	global_atomic_pk_add_bf16 v4, v67, s[16:17]                // 0000000062C8: DD488000 00104304
	s_addk_i32 s33, 0x1                                        // 0000000062D0: B7210001
	s_mov_b32 s58, -1                                          // 0000000062D4: BEBA00C1
	s_mov_b32 s59, -1                                          // 0000000062D8: BEBB00C1
	s_mov_b64 exec, s[58:59]                                   // 0000000062DC: BEFE013A
	v_add_u32_e64 v4, v4, s31                                  // 0000000062E0: D1340004 00003F04
	s_cmp_lt_i32 s33, s55                                      // 0000000062E8: BF043721
	s_cbranch_scc0 label_0E64                                  // 0000000062EC: BF840028
	s_mov_b32 s58, -1                                          // 0000000062F0: BEBA00C1
	s_mov_b32 s59, 0                                           // 0000000062F4: BEBB0080
	s_mov_b64 exec, s[58:59]                                   // 0000000062F8: BEFE013A
	global_atomic_pk_add_bf16 v4, v68, s[16:17]                // 0000000062FC: DD488000 00104404
	s_addk_i32 s33, 0x1                                        // 000000006304: B7210001
	s_cmp_lt_i32 s33, s55                                      // 000000006308: BF043721
	s_cbranch_scc0 label_0E64                                  // 00000000630C: BF840020
	s_mov_b32 s58, 0                                           // 000000006310: BEBA0080
	s_mov_b32 s59, -1                                          // 000000006314: BEBB00C1
	s_mov_b64 exec, s[58:59]                                   // 000000006318: BEFE013A
	global_atomic_pk_add_bf16 v4, v68, s[16:17]                // 00000000631C: DD488000 00104404
	s_addk_i32 s33, 0x1                                        // 000000006324: B7210001
	s_mov_b32 s58, -1                                          // 000000006328: BEBA00C1
	s_mov_b32 s59, -1                                          // 00000000632C: BEBB00C1
	s_mov_b64 exec, s[58:59]                                   // 000000006330: BEFE013A
	v_add_u32_e64 v4, v4, s31                                  // 000000006334: D1340004 00003F04
	s_cmp_lt_i32 s33, s55                                      // 00000000633C: BF043721
	s_cbranch_scc0 label_0E64                                  // 000000006340: BF840013
	s_mov_b32 s58, -1                                          // 000000006344: BEBA00C1
	s_mov_b32 s59, 0                                           // 000000006348: BEBB0080
	s_mov_b64 exec, s[58:59]                                   // 00000000634C: BEFE013A
	global_atomic_pk_add_bf16 v4, v69, s[16:17]                // 000000006350: DD488000 00104504
	s_addk_i32 s33, 0x1                                        // 000000006358: B7210001
	s_cmp_lt_i32 s33, s55                                      // 00000000635C: BF043721
	s_cbranch_scc0 label_0E64                                  // 000000006360: BF84000B
	s_mov_b32 s58, 0                                           // 000000006364: BEBA0080
	s_mov_b32 s59, -1                                          // 000000006368: BEBB00C1
	s_mov_b64 exec, s[58:59]                                   // 00000000636C: BEFE013A
	global_atomic_pk_add_bf16 v4, v69, s[16:17]                // 000000006370: DD488000 00104504
	s_addk_i32 s33, 0x1                                        // 000000006378: B7210001
	s_mov_b32 s58, -1                                          // 00000000637C: BEBA00C1
	s_mov_b32 s59, -1                                          // 000000006380: BEBB00C1
	s_mov_b64 exec, s[58:59]                                   // 000000006384: BEFE013A
	v_add_u32_e64 v4, v4, s31                                  // 000000006388: D1340004 00003F04

0000000000006390 <label_0E64>:
	s_barrier                                                  // 000000006390: BF8A0000
	s_cmp_eq_u32 s24, 0                                        // 000000006394: BF068018
	s_cbranch_scc0 label_0F0D                                  // 000000006398: BF8400A6
	s_atomic_dec s52, s[40:41], s62                            // 00000000639C: C2300D14 0000003E
	s_branch label_0F0D                                        // 0000000063A4: BF8200A3

00000000000063a8 <label_0E6A>:
	s_cmp_lt_u32 s54, 1                                        // 0000000063A8: BF0A8136
	s_cbranch_scc0 label_0E77                                  // 0000000063AC: BF84000B
	buffer_store_dwordx4 v[40:43], v12, s[16:19], 0 offen      // 0000000063B0: E07C1000 8004280C
	buffer_store_dwordx4 v[44:47], v13, s[16:19], 0 offen      // 0000000063B8: E07C1000 80042C0D
	buffer_store_dwordx4 v[48:51], v14, s[16:19], 0 offen      // 0000000063C0: E07C1000 8004300E
	buffer_store_dwordx4 v[52:55], v15, s[16:19], 0 offen      // 0000000063C8: E07C1000 8004340F
	buffer_store_dwordx4 v[56:59], v16, s[16:19], 0 offen      // 0000000063D0: E07C1000 80043810
	s_branch label_0F0D                                        // 0000000063D8: BF820096

00000000000063dc <label_0E77>:
	v_cmp_u_f32_e64 s[60:61], v40, v40                         // 0000000063DC: D048003C 00025128
	v_add3_u32 v8, v40, v11, 1                                 // 0000000063E4: D1FF0008 02061728
	v_cndmask_b32_e64 v4, v8, v10, s[60:61]                    // 0000000063EC: D1000004 00F21508
	v_cmp_u_f32_e64 s[60:61], v41, v41                         // 0000000063F4: D048003C 00025329
	v_add3_u32 v8, v41, v11, 1                                 // 0000000063FC: D1FF0008 02061729
	v_cndmask_b32_e64 v5, v8, v10, s[60:61]                    // 000000006404: D1000005 00F21508
	v_perm_b32 v60, v5, v4, s35                                // 00000000640C: D1ED003C 008E0905
	v_cmp_u_f32_e64 s[60:61], v42, v42                         // 000000006414: D048003C 0002552A
	v_add3_u32 v8, v42, v11, 1                                 // 00000000641C: D1FF0008 0206172A
	v_cndmask_b32_e64 v4, v8, v10, s[60:61]                    // 000000006424: D1000004 00F21508
	v_cmp_u_f32_e64 s[60:61], v43, v43                         // 00000000642C: D048003C 0002572B
	v_add3_u32 v8, v43, v11, 1                                 // 000000006434: D1FF0008 0206172B
	v_cndmask_b32_e64 v5, v8, v10, s[60:61]                    // 00000000643C: D1000005 00F21508
	v_perm_b32 v61, v5, v4, s35                                // 000000006444: D1ED003D 008E0905
	buffer_store_dwordx2 v[60:61], v12, s[16:19], 0 offen      // 00000000644C: E0741000 80043C0C
	v_cmp_u_f32_e64 s[60:61], v44, v44                         // 000000006454: D048003C 0002592C
	v_add3_u32 v8, v44, v11, 1                                 // 00000000645C: D1FF0008 0206172C
	v_cndmask_b32_e64 v4, v8, v10, s[60:61]                    // 000000006464: D1000004 00F21508
	v_cmp_u_f32_e64 s[60:61], v45, v45                         // 00000000646C: D048003C 00025B2D
	v_add3_u32 v8, v45, v11, 1                                 // 000000006474: D1FF0008 0206172D
	v_cndmask_b32_e64 v5, v8, v10, s[60:61]                    // 00000000647C: D1000005 00F21508
	v_perm_b32 v62, v5, v4, s35                                // 000000006484: D1ED003E 008E0905
	v_cmp_u_f32_e64 s[60:61], v46, v46                         // 00000000648C: D048003C 00025D2E
	v_add3_u32 v8, v46, v11, 1                                 // 000000006494: D1FF0008 0206172E
	v_cndmask_b32_e64 v4, v8, v10, s[60:61]                    // 00000000649C: D1000004 00F21508
	v_cmp_u_f32_e64 s[60:61], v47, v47                         // 0000000064A4: D048003C 00025F2F
	v_add3_u32 v8, v47, v11, 1                                 // 0000000064AC: D1FF0008 0206172F
	v_cndmask_b32_e64 v5, v8, v10, s[60:61]                    // 0000000064B4: D1000005 00F21508
	v_perm_b32 v63, v5, v4, s35                                // 0000000064BC: D1ED003F 008E0905
	buffer_store_dwordx2 v[62:63], v13, s[16:19], 0 offen      // 0000000064C4: E0741000 80043E0D
	v_cmp_u_f32_e64 s[60:61], v48, v48                         // 0000000064CC: D048003C 00026130
	v_add3_u32 v8, v48, v11, 1                                 // 0000000064D4: D1FF0008 02061730
	v_cndmask_b32_e64 v4, v8, v10, s[60:61]                    // 0000000064DC: D1000004 00F21508
	v_cmp_u_f32_e64 s[60:61], v49, v49                         // 0000000064E4: D048003C 00026331
	v_add3_u32 v8, v49, v11, 1                                 // 0000000064EC: D1FF0008 02061731
	v_cndmask_b32_e64 v5, v8, v10, s[60:61]                    // 0000000064F4: D1000005 00F21508
	v_perm_b32 v64, v5, v4, s35                                // 0000000064FC: D1ED0040 008E0905
	v_cmp_u_f32_e64 s[60:61], v50, v50                         // 000000006504: D048003C 00026532
	v_add3_u32 v8, v50, v11, 1                                 // 00000000650C: D1FF0008 02061732
	v_cndmask_b32_e64 v4, v8, v10, s[60:61]                    // 000000006514: D1000004 00F21508
	v_cmp_u_f32_e64 s[60:61], v51, v51                         // 00000000651C: D048003C 00026733
	v_add3_u32 v8, v51, v11, 1                                 // 000000006524: D1FF0008 02061733
	v_cndmask_b32_e64 v5, v8, v10, s[60:61]                    // 00000000652C: D1000005 00F21508
	v_perm_b32 v65, v5, v4, s35                                // 000000006534: D1ED0041 008E0905
	buffer_store_dwordx2 v[64:65], v14, s[16:19], 0 offen      // 00000000653C: E0741000 8004400E
	v_cmp_u_f32_e64 s[60:61], v52, v52                         // 000000006544: D048003C 00026934
	v_add3_u32 v8, v52, v11, 1                                 // 00000000654C: D1FF0008 02061734
	v_cndmask_b32_e64 v4, v8, v10, s[60:61]                    // 000000006554: D1000004 00F21508
	v_cmp_u_f32_e64 s[60:61], v53, v53                         // 00000000655C: D048003C 00026B35
	v_add3_u32 v8, v53, v11, 1                                 // 000000006564: D1FF0008 02061735
	v_cndmask_b32_e64 v5, v8, v10, s[60:61]                    // 00000000656C: D1000005 00F21508
	v_perm_b32 v66, v5, v4, s35                                // 000000006574: D1ED0042 008E0905
	v_cmp_u_f32_e64 s[60:61], v54, v54                         // 00000000657C: D048003C 00026D36
	v_add3_u32 v8, v54, v11, 1                                 // 000000006584: D1FF0008 02061736
	v_cndmask_b32_e64 v4, v8, v10, s[60:61]                    // 00000000658C: D1000004 00F21508
	v_cmp_u_f32_e64 s[60:61], v55, v55                         // 000000006594: D048003C 00026F37
	v_add3_u32 v8, v55, v11, 1                                 // 00000000659C: D1FF0008 02061737
	v_cndmask_b32_e64 v5, v8, v10, s[60:61]                    // 0000000065A4: D1000005 00F21508
	v_perm_b32 v67, v5, v4, s35                                // 0000000065AC: D1ED0043 008E0905
	buffer_store_dwordx2 v[66:67], v15, s[16:19], 0 offen      // 0000000065B4: E0741000 8004420F
	v_cmp_u_f32_e64 s[60:61], v56, v56                         // 0000000065BC: D048003C 00027138
	v_add3_u32 v8, v56, v11, 1                                 // 0000000065C4: D1FF0008 02061738
	v_cndmask_b32_e64 v4, v8, v10, s[60:61]                    // 0000000065CC: D1000004 00F21508
	v_cmp_u_f32_e64 s[60:61], v57, v57                         // 0000000065D4: D048003C 00027339
	v_add3_u32 v8, v57, v11, 1                                 // 0000000065DC: D1FF0008 02061739
	v_cndmask_b32_e64 v5, v8, v10, s[60:61]                    // 0000000065E4: D1000005 00F21508
	v_perm_b32 v68, v5, v4, s35                                // 0000000065EC: D1ED0044 008E0905
	v_cmp_u_f32_e64 s[60:61], v58, v58                         // 0000000065F4: D048003C 0002753A
	v_add3_u32 v8, v58, v11, 1                                 // 0000000065FC: D1FF0008 0206173A
	v_cndmask_b32_e64 v4, v8, v10, s[60:61]                    // 000000006604: D1000004 00F21508
	v_cmp_u_f32_e64 s[60:61], v59, v59                         // 00000000660C: D048003C 0002773B
	v_add3_u32 v8, v59, v11, 1                                 // 000000006614: D1FF0008 0206173B
	v_cndmask_b32_e64 v5, v8, v10, s[60:61]                    // 00000000661C: D1000005 00F21508
	v_perm_b32 v69, v5, v4, s35                                // 000000006624: D1ED0045 008E0905
	buffer_store_dwordx2 v[68:69], v16, s[16:19], 0 offen      // 00000000662C: E0741000 80044410

0000000000006634 <label_0F0D>:
	s_waitcnt vmcnt(0) expcnt(0) lgkmcnt(0)                    // 000000006634: BF8C0000
	s_endpgm                                                   // 000000006638: BF810000
